;; amdgpu-corpus repo=ROCm/rocFFT kind=compiled arch=gfx906 opt=O3
	.text
	.amdgcn_target "amdgcn-amd-amdhsa--gfx906"
	.amdhsa_code_object_version 6
	.protected	bluestein_single_fwd_len1716_dim1_sp_op_CI_CI ; -- Begin function bluestein_single_fwd_len1716_dim1_sp_op_CI_CI
	.globl	bluestein_single_fwd_len1716_dim1_sp_op_CI_CI
	.p2align	8
	.type	bluestein_single_fwd_len1716_dim1_sp_op_CI_CI,@function
bluestein_single_fwd_len1716_dim1_sp_op_CI_CI: ; @bluestein_single_fwd_len1716_dim1_sp_op_CI_CI
; %bb.0:
	s_load_dwordx4 s[0:3], s[4:5], 0x28
	v_mul_u32_u24_e32 v1, 0x1a5, v0
	v_add_u32_sdwa v60, s6, v1 dst_sel:DWORD dst_unused:UNUSED_PAD src0_sel:DWORD src1_sel:WORD_1
	v_mov_b32_e32 v61, 0
	s_waitcnt lgkmcnt(0)
	v_cmp_gt_u64_e32 vcc, s[0:1], v[60:61]
	s_and_saveexec_b64 s[0:1], vcc
	s_cbranch_execz .LBB0_31
; %bb.1:
	s_load_dwordx2 s[12:13], s[4:5], 0x0
	s_load_dwordx2 s[6:7], s[4:5], 0x38
	s_movk_i32 s0, 0x9c
	v_mul_lo_u16_sdwa v1, v1, s0 dst_sel:DWORD dst_unused:UNUSED_PAD src0_sel:WORD_1 src1_sel:DWORD
	v_sub_u16_e32 v84, v0, v1
	s_movk_i32 s0, 0x84
	v_cmp_gt_u16_e64 s[0:1], s0, v84
	v_lshlrev_b32_e32 v83, 3, v84
	s_and_saveexec_b64 s[8:9], s[0:1]
	s_cbranch_execz .LBB0_3
; %bb.2:
	s_load_dwordx2 s[10:11], s[4:5], 0x18
	s_waitcnt lgkmcnt(0)
	s_load_dwordx4 s[16:19], s[10:11], 0x0
	s_waitcnt lgkmcnt(0)
	v_mad_u64_u32 v[0:1], s[10:11], s18, v60, 0
	v_mad_u64_u32 v[2:3], s[10:11], s16, v84, 0
	;; [unrolled: 1-line block ×4, first 2 shown]
	v_mov_b32_e32 v1, v4
	v_lshlrev_b64 v[0:1], 3, v[0:1]
	v_mov_b32_e32 v3, v5
	v_mov_b32_e32 v6, s3
	v_lshlrev_b64 v[2:3], 3, v[2:3]
	v_add_co_u32_e32 v0, vcc, s2, v0
	v_addc_co_u32_e32 v1, vcc, v6, v1, vcc
	v_add_co_u32_e32 v0, vcc, v0, v2
	v_addc_co_u32_e32 v1, vcc, v1, v3, vcc
	v_mov_b32_e32 v2, s13
	v_add_co_u32_e32 v52, vcc, s12, v83
	s_mul_i32 s2, s17, 0x420
	s_mul_hi_u32 s3, s16, 0x420
	v_addc_co_u32_e32 v53, vcc, 0, v2, vcc
	s_add_i32 s2, s3, s2
	s_mul_i32 s3, s16, 0x420
	v_mov_b32_e32 v3, s2
	v_add_co_u32_e32 v2, vcc, s3, v0
	v_addc_co_u32_e32 v3, vcc, v1, v3, vcc
	v_mov_b32_e32 v5, s2
	v_add_co_u32_e32 v4, vcc, s3, v2
	v_addc_co_u32_e32 v5, vcc, v3, v5, vcc
	v_mov_b32_e32 v13, s2
	v_add_co_u32_e32 v12, vcc, s3, v4
	v_addc_co_u32_e32 v13, vcc, v5, v13, vcc
	global_load_dwordx2 v[6:7], v83, s[12:13]
	global_load_dwordx2 v[8:9], v83, s[12:13] offset:1056
	global_load_dwordx2 v[10:11], v83, s[12:13] offset:2112
	global_load_dwordx2 v[14:15], v[0:1], off
	global_load_dwordx2 v[16:17], v[2:3], off
	;; [unrolled: 1-line block ×4, first 2 shown]
	global_load_dwordx2 v[22:23], v83, s[12:13] offset:3168
	v_mov_b32_e32 v1, s2
	v_add_co_u32_e32 v0, vcc, s3, v12
	v_addc_co_u32_e32 v1, vcc, v13, v1, vcc
	s_movk_i32 s10, 0x1000
	v_add_co_u32_e32 v4, vcc, s10, v52
	v_addc_co_u32_e32 v5, vcc, 0, v53, vcc
	global_load_dwordx2 v[2:3], v[0:1], off
	v_mov_b32_e32 v12, s2
	v_add_co_u32_e32 v0, vcc, s3, v0
	v_addc_co_u32_e32 v1, vcc, v1, v12, vcc
	global_load_dwordx2 v[12:13], v[0:1], off
	v_mov_b32_e32 v24, s2
	;; [unrolled: 4-line block ×3, first 2 shown]
	v_add_co_u32_e32 v0, vcc, s3, v0
	v_addc_co_u32_e32 v1, vcc, v1, v26, vcc
	global_load_dwordx2 v[26:27], v[0:1], off
	global_load_dwordx2 v[28:29], v[4:5], off offset:128
	global_load_dwordx2 v[30:31], v[4:5], off offset:1184
	;; [unrolled: 1-line block ×4, first 2 shown]
	v_mov_b32_e32 v4, s2
	v_add_co_u32_e32 v0, vcc, s3, v0
	v_addc_co_u32_e32 v1, vcc, v1, v4, vcc
	s_movk_i32 s10, 0x2000
	v_add_co_u32_e32 v36, vcc, s10, v52
	v_addc_co_u32_e32 v37, vcc, 0, v53, vcc
	global_load_dwordx2 v[4:5], v[0:1], off
	v_mov_b32_e32 v38, s2
	v_add_co_u32_e32 v0, vcc, s3, v0
	v_addc_co_u32_e32 v1, vcc, v1, v38, vcc
	global_load_dwordx2 v[38:39], v[0:1], off
	global_load_dwordx2 v[40:41], v[36:37], off offset:256
	global_load_dwordx2 v[42:43], v[36:37], off offset:1312
	v_mov_b32_e32 v44, s2
	v_add_co_u32_e32 v0, vcc, s3, v0
	v_addc_co_u32_e32 v1, vcc, v1, v44, vcc
	global_load_dwordx2 v[44:45], v[0:1], off
	v_mov_b32_e32 v46, s2
	v_add_co_u32_e32 v0, vcc, s3, v0
	v_addc_co_u32_e32 v1, vcc, v1, v46, vcc
	global_load_dwordx2 v[46:47], v[0:1], off
	global_load_dwordx2 v[48:49], v[36:37], off offset:2368
	global_load_dwordx2 v[50:51], v[36:37], off offset:3424
	v_mov_b32_e32 v36, s2
	v_add_co_u32_e32 v0, vcc, s3, v0
	v_addc_co_u32_e32 v1, vcc, v1, v36, vcc
	v_add_co_u32_e32 v36, vcc, 0x3000, v52
	v_addc_co_u32_e32 v37, vcc, 0, v53, vcc
	global_load_dwordx2 v[0:1], v[0:1], off
	s_waitcnt vmcnt(21)
	v_mul_f32_e32 v52, v15, v7
	global_load_dwordx2 v[36:37], v[36:37], off offset:384
	v_mul_f32_e32 v7, v14, v7
	v_fmac_f32_e32 v52, v14, v6
	v_fma_f32 v53, v15, v6, -v7
	s_waitcnt vmcnt(21)
	v_mul_f32_e32 v6, v17, v9
	v_mul_f32_e32 v7, v16, v9
	v_fmac_f32_e32 v6, v16, v8
	v_fma_f32 v7, v17, v8, -v7
	ds_write2_b64 v83, v[52:53], v[6:7] offset1:132
	s_waitcnt vmcnt(20)
	v_mul_f32_e32 v6, v19, v11
	v_mul_f32_e32 v7, v18, v11
	s_waitcnt vmcnt(18)
	v_mul_f32_e32 v8, v21, v23
	v_mul_f32_e32 v9, v20, v23
	v_fmac_f32_e32 v6, v18, v10
	v_fma_f32 v7, v19, v10, -v7
	v_fmac_f32_e32 v8, v20, v22
	v_fma_f32 v9, v21, v22, -v9
	v_add_u32_e32 v10, 0x800, v83
	ds_write2_b64 v10, v[6:7], v[8:9] offset0:8 offset1:140
	v_add_u32_e32 v8, 0x1000, v83
	s_waitcnt vmcnt(13)
	v_mul_f32_e32 v6, v3, v29
	v_fmac_f32_e32 v6, v2, v28
	v_mul_f32_e32 v2, v2, v29
	v_fma_f32 v7, v3, v28, -v2
	s_waitcnt vmcnt(12)
	v_mul_f32_e32 v2, v13, v31
	v_mul_f32_e32 v3, v12, v31
	v_fmac_f32_e32 v2, v12, v30
	v_fma_f32 v3, v13, v30, -v3
	ds_write2_b64 v8, v[6:7], v[2:3] offset0:16 offset1:148
	s_waitcnt vmcnt(11)
	v_mul_f32_e32 v2, v25, v33
	v_mul_f32_e32 v3, v24, v33
	s_waitcnt vmcnt(10)
	v_mul_f32_e32 v6, v27, v35
	v_mul_f32_e32 v7, v26, v35
	v_fmac_f32_e32 v2, v24, v32
	v_fma_f32 v3, v25, v32, -v3
	v_fmac_f32_e32 v6, v26, v34
	v_fma_f32 v7, v27, v34, -v7
	v_add_u32_e32 v8, 0x1800, v83
	ds_write2_b64 v8, v[2:3], v[6:7] offset0:24 offset1:156
	s_waitcnt vmcnt(7)
	v_mul_f32_e32 v2, v5, v41
	v_mul_f32_e32 v3, v4, v41
	v_fmac_f32_e32 v2, v4, v40
	v_fma_f32 v3, v5, v40, -v3
	s_waitcnt vmcnt(6)
	v_mul_f32_e32 v4, v39, v43
	v_mul_f32_e32 v5, v38, v43
	v_fmac_f32_e32 v4, v38, v42
	v_fma_f32 v5, v39, v42, -v5
	v_add_u32_e32 v6, 0x2000, v83
	ds_write2_b64 v6, v[2:3], v[4:5] offset0:32 offset1:164
	v_add_u32_e32 v6, 0x2800, v83
	s_waitcnt vmcnt(3)
	v_mul_f32_e32 v2, v45, v49
	v_mul_f32_e32 v3, v44, v49
	s_waitcnt vmcnt(2)
	v_mul_f32_e32 v4, v47, v51
	v_mul_f32_e32 v5, v46, v51
	v_fmac_f32_e32 v2, v44, v48
	v_fma_f32 v3, v45, v48, -v3
	v_fmac_f32_e32 v4, v46, v50
	v_fma_f32 v5, v47, v50, -v5
	ds_write2_b64 v6, v[2:3], v[4:5] offset0:40 offset1:172
	s_waitcnt vmcnt(0)
	v_mul_f32_e32 v2, v1, v37
	v_fmac_f32_e32 v2, v0, v36
	v_mul_f32_e32 v0, v0, v37
	v_fma_f32 v3, v1, v36, -v0
	ds_write_b64 v83, v[2:3] offset:12672
.LBB0_3:
	s_or_b64 exec, exec, s[8:9]
	v_mov_b32_e32 v0, 0
	v_mov_b32_e32 v1, 0
	s_waitcnt lgkmcnt(0)
	s_barrier
	s_waitcnt lgkmcnt(0)
                                        ; implicit-def: $vgpr6
                                        ; implicit-def: $vgpr18
                                        ; implicit-def: $vgpr22
                                        ; implicit-def: $vgpr28
                                        ; implicit-def: $vgpr14
                                        ; implicit-def: $vgpr10
	s_and_saveexec_b64 s[2:3], s[0:1]
	s_cbranch_execz .LBB0_5
; %bb.4:
	v_add_u32_e32 v4, 0x800, v83
	ds_read2_b64 v[8:11], v4 offset0:8 offset1:140
	v_add_u32_e32 v4, 0x1000, v83
	ds_read2_b64 v[12:15], v4 offset0:16 offset1:148
	v_add_u32_e32 v4, 0x1800, v83
	v_add_u32_e32 v16, 0x2000, v83
	;; [unrolled: 1-line block ×3, first 2 shown]
	ds_read2_b64 v[0:3], v83 offset1:132
	ds_read2_b64 v[4:7], v4 offset0:24 offset1:156
	ds_read2_b64 v[16:19], v16 offset0:32 offset1:164
	;; [unrolled: 1-line block ×3, first 2 shown]
	ds_read_b64 v[28:29], v83 offset:12672
.LBB0_5:
	s_or_b64 exec, exec, s[2:3]
	s_waitcnt lgkmcnt(0)
	v_sub_f32_e32 v58, v3, v29
	v_mul_f32_e32 v37, 0xbeedf032, v58
	v_sub_f32_e32 v67, v9, v23
	v_add_f32_e32 v30, v28, v2
	v_sub_f32_e32 v66, v2, v28
	v_mov_b32_e32 v24, v37
	v_mul_f32_e32 v41, 0xbf52af12, v67
	v_add_f32_e32 v31, v29, v3
	s_mov_b32 s10, 0x3f62ad3f
	v_mul_f32_e32 v40, 0xbeedf032, v66
	v_fmac_f32_e32 v24, 0x3f62ad3f, v30
	v_add_f32_e32 v32, v22, v8
	v_sub_f32_e32 v71, v8, v22
	v_mov_b32_e32 v34, v41
	v_add_f32_e32 v24, v24, v0
	v_fma_f32 v25, v31, s10, -v40
	s_mov_b32 s11, 0x3f116cb1
	v_mul_f32_e32 v43, 0xbf52af12, v58
	v_add_f32_e32 v33, v23, v9
	v_mul_f32_e32 v45, 0xbf52af12, v71
	v_fmac_f32_e32 v34, 0x3f116cb1, v32
	v_add_f32_e32 v25, v25, v1
	v_mov_b32_e32 v26, v43
	v_add_f32_e32 v24, v34, v24
	v_fma_f32 v34, v33, s11, -v45
	v_mul_f32_e32 v49, 0xbf6f5d39, v67
	v_mul_f32_e32 v46, 0xbf52af12, v66
	v_fmac_f32_e32 v26, 0x3f116cb1, v30
	v_add_f32_e32 v25, v34, v25
	v_mov_b32_e32 v34, v49
	v_add_f32_e32 v26, v26, v0
	v_fma_f32 v27, v31, s11, -v46
	s_mov_b32 s17, 0xbeb58ec6
	v_mul_f32_e32 v51, 0xbf6f5d39, v71
	v_fmac_f32_e32 v34, 0xbeb58ec6, v32
	v_sub_f32_e32 v72, v11, v21
	v_add_f32_e32 v27, v27, v1
	v_add_f32_e32 v26, v34, v26
	v_fma_f32 v34, v33, s17, -v51
	v_mul_f32_e32 v47, 0xbf7e222b, v72
	v_add_f32_e32 v27, v34, v27
	v_add_f32_e32 v34, v20, v10
	v_sub_f32_e32 v74, v10, v20
	v_mov_b32_e32 v36, v47
	s_mov_b32 s16, 0x3df6dbef
	v_add_f32_e32 v35, v21, v11
	v_mul_f32_e32 v50, 0xbf7e222b, v74
	v_fmac_f32_e32 v36, 0x3df6dbef, v34
	v_add_f32_e32 v24, v36, v24
	v_fma_f32 v36, v35, s16, -v50
	v_mul_f32_e32 v53, 0xbe750f2a, v72
	v_add_f32_e32 v25, v36, v25
	v_mov_b32_e32 v36, v53
	s_mov_b32 s18, 0xbf788fa5
	v_mul_f32_e32 v55, 0xbe750f2a, v74
	v_fmac_f32_e32 v36, 0xbf788fa5, v34
	v_sub_f32_e32 v75, v13, v19
	v_add_f32_e32 v26, v36, v26
	v_fma_f32 v36, v35, s18, -v55
	v_mul_f32_e32 v52, 0xbf6f5d39, v75
	v_add_f32_e32 v27, v36, v27
	v_add_f32_e32 v36, v18, v12
	v_sub_f32_e32 v76, v12, v18
	v_mov_b32_e32 v39, v52
	v_add_f32_e32 v38, v19, v13
	v_mul_f32_e32 v54, 0xbf6f5d39, v76
	v_fmac_f32_e32 v39, 0xbeb58ec6, v36
	v_add_f32_e32 v24, v39, v24
	v_fma_f32 v39, v38, s17, -v54
	v_mul_f32_e32 v57, 0x3f29c268, v75
	v_add_f32_e32 v25, v39, v25
	v_mov_b32_e32 v39, v57
	s_mov_b32 s19, 0xbf3f9e67
	v_mul_f32_e32 v63, 0x3f29c268, v76
	v_fmac_f32_e32 v39, 0xbf3f9e67, v36
	v_sub_f32_e32 v77, v15, v17
	v_add_f32_e32 v26, v39, v26
	v_fma_f32 v39, v38, s19, -v63
	v_mul_f32_e32 v56, 0xbf29c268, v77
	v_add_f32_e32 v27, v39, v27
	v_add_f32_e32 v39, v16, v14
	v_sub_f32_e32 v82, v14, v16
	v_mov_b32_e32 v44, v56
	v_add_f32_e32 v42, v17, v15
	v_mul_f32_e32 v59, 0xbf29c268, v82
	v_fmac_f32_e32 v44, 0xbf3f9e67, v39
	v_add_f32_e32 v24, v44, v24
	v_fma_f32 v44, v42, s19, -v59
	v_mul_f32_e32 v65, 0x3f7e222b, v77
	v_add_f32_e32 v25, v44, v25
	v_mov_b32_e32 v44, v65
	v_mul_f32_e32 v69, 0x3f7e222b, v82
	v_fmac_f32_e32 v44, 0x3df6dbef, v39
	v_sub_f32_e32 v87, v5, v7
	v_add_f32_e32 v26, v44, v26
	v_fma_f32 v44, v42, s16, -v69
	v_mul_f32_e32 v64, 0xbe750f2a, v87
	v_add_f32_e32 v27, v44, v27
	v_add_f32_e32 v44, v6, v4
	v_sub_f32_e32 v91, v4, v6
	v_mov_b32_e32 v61, v64
	v_add_f32_e32 v48, v7, v5
	v_mul_f32_e32 v68, 0xbe750f2a, v91
	v_fmac_f32_e32 v61, 0xbf788fa5, v44
	v_add_f32_e32 v61, v61, v24
	v_fma_f32 v24, v48, s18, -v68
	v_mul_f32_e32 v70, 0x3eedf032, v87
	v_add_f32_e32 v62, v24, v25
	v_mov_b32_e32 v24, v70
	v_mul_f32_e32 v73, 0x3eedf032, v91
	v_fmac_f32_e32 v24, 0x3f62ad3f, v44
	v_mul_f32_e32 v78, 0xbf7e222b, v58
	v_add_f32_e32 v24, v24, v26
	v_fma_f32 v25, v48, s10, -v73
	v_mov_b32_e32 v26, v78
	v_mul_f32_e32 v79, 0xbe750f2a, v67
	v_add_f32_e32 v25, v25, v27
	v_fmac_f32_e32 v26, 0x3df6dbef, v30
	v_mov_b32_e32 v27, v79
	v_add_f32_e32 v26, v26, v0
	v_fmac_f32_e32 v27, 0xbf788fa5, v32
	v_mul_f32_e32 v89, 0xbf7e222b, v66
	v_add_f32_e32 v26, v27, v26
	v_fma_f32 v27, v31, s16, -v89
	v_mul_f32_e32 v90, 0xbe750f2a, v71
	v_add_f32_e32 v27, v27, v1
	v_fma_f32 v80, v33, s18, -v90
	v_add_f32_e32 v27, v80, v27
	v_mul_f32_e32 v80, 0x3f6f5d39, v72
	v_mov_b32_e32 v81, v80
	v_fmac_f32_e32 v81, 0xbeb58ec6, v34
	v_mul_f32_e32 v92, 0x3f6f5d39, v74
	v_add_f32_e32 v26, v81, v26
	v_fma_f32 v81, v35, s17, -v92
	v_add_f32_e32 v27, v81, v27
	v_mul_f32_e32 v81, 0x3eedf032, v75
	v_mov_b32_e32 v85, v81
	v_fmac_f32_e32 v85, 0x3f62ad3f, v36
	v_mul_f32_e32 v93, 0x3eedf032, v76
	v_add_f32_e32 v26, v85, v26
	v_fma_f32 v85, v38, s10, -v93
	v_mul_f32_e32 v86, 0xbf52af12, v77
	v_add_f32_e32 v27, v85, v27
	v_mov_b32_e32 v85, v86
	v_fmac_f32_e32 v85, 0x3f116cb1, v39
	v_mul_f32_e32 v94, 0xbf52af12, v82
	v_add_f32_e32 v26, v85, v26
	v_fma_f32 v85, v42, s11, -v94
	v_mul_f32_e32 v88, 0xbf29c268, v87
	s_load_dwordx2 s[8:9], s[4:5], 0x20
	s_load_dwordx2 s[14:15], s[4:5], 0x8
	v_add_f32_e32 v27, v85, v27
	v_mov_b32_e32 v85, v88
	v_fmac_f32_e32 v85, 0xbf3f9e67, v44
	v_mul_f32_e32 v95, 0xbf29c268, v91
	v_add_f32_e32 v26, v85, v26
	v_fma_f32 v85, v48, s19, -v95
	v_add_f32_e32 v27, v85, v27
	v_mul_lo_u16_e32 v85, 13, v84
	s_waitcnt lgkmcnt(0)
	s_barrier
	s_and_saveexec_b64 s[2:3], s[0:1]
	s_cbranch_execz .LBB0_7
; %bb.6:
	v_mul_f32_e32 v100, 0xbf3f9e67, v31
	v_mov_b32_e32 v96, v100
	v_mul_f32_e32 v101, 0x3df6dbef, v33
	v_fmac_f32_e32 v96, 0x3f29c268, v66
	v_mov_b32_e32 v97, v101
	v_add_f32_e32 v96, v96, v1
	v_fmac_f32_e32 v97, 0xbf7e222b, v71
	v_mul_f32_e32 v103, 0x3f116cb1, v35
	v_add_f32_e32 v96, v97, v96
	v_mov_b32_e32 v97, v103
	v_fmac_f32_e32 v97, 0x3f52af12, v74
	v_mul_f32_e32 v104, 0xbf788fa5, v38
	v_add_f32_e32 v96, v97, v96
	v_mov_b32_e32 v97, v104
	;; [unrolled: 4-line block ×5, first 2 shown]
	v_mul_f32_e32 v108, 0x3f7e222b, v67
	v_fmac_f32_e32 v96, 0xbf3f9e67, v30
	v_mov_b32_e32 v98, v108
	v_add_f32_e32 v96, v96, v0
	v_fmac_f32_e32 v98, 0x3df6dbef, v32
	v_mul_f32_e32 v109, 0xbf52af12, v72
	v_add_f32_e32 v96, v98, v96
	v_mov_b32_e32 v98, v109
	v_fmac_f32_e32 v98, 0x3f116cb1, v34
	v_mul_f32_e32 v110, 0x3e750f2a, v75
	v_add_f32_e32 v96, v98, v96
	v_mov_b32_e32 v98, v110
	v_fmac_f32_e32 v100, 0xbf29c268, v66
	v_fmac_f32_e32 v98, 0xbf788fa5, v36
	v_mul_f32_e32 v111, 0x3eedf032, v77
	v_add_f32_e32 v100, v100, v1
	v_fmac_f32_e32 v101, 0x3f7e222b, v71
	v_add_f32_e32 v96, v98, v96
	v_mov_b32_e32 v98, v111
	v_add_f32_e32 v100, v101, v100
	v_fmac_f32_e32 v103, 0xbf52af12, v74
	v_fmac_f32_e32 v98, 0x3f62ad3f, v39
	v_mul_f32_e32 v112, 0xbf6f5d39, v87
	v_add_f32_e32 v100, v103, v100
	v_fmac_f32_e32 v104, 0x3e750f2a, v76
	v_fma_f32 v101, v30, s19, -v107
	v_add_f32_e32 v96, v98, v96
	v_mov_b32_e32 v98, v112
	v_add_f32_e32 v100, v104, v100
	v_fmac_f32_e32 v105, 0x3eedf032, v82
	v_add_f32_e32 v101, v101, v0
	v_fma_f32 v107, v32, s16, -v108
	v_fmac_f32_e32 v98, 0xbeb58ec6, v44
	v_mul_f32_e32 v113, 0xbe750f2a, v66
	v_add_f32_e32 v100, v105, v100
	v_add_f32_e32 v101, v107, v101
	v_fma_f32 v108, v34, s11, -v109
	v_fmac_f32_e32 v106, 0xbf6f5d39, v91
	v_add_f32_e32 v96, v98, v96
	v_mov_b32_e32 v98, v113
	v_mul_f32_e32 v114, 0x3eedf032, v71
	v_add_f32_e32 v108, v108, v101
	v_add_f32_e32 v101, v106, v100
	v_fma_f32 v100, v36, s18, -v110
	v_fmac_f32_e32 v98, 0xbf788fa5, v31
	v_mov_b32_e32 v99, v114
	v_add_f32_e32 v100, v100, v108
	v_fma_f32 v106, v39, s10, -v111
	v_add_f32_e32 v98, v98, v1
	v_fmac_f32_e32 v99, 0x3f62ad3f, v33
	v_mul_f32_e32 v115, 0xbf29c268, v74
	v_add_f32_e32 v100, v106, v100
	v_fma_f32 v106, v44, s17, -v112
	v_add_f32_e32 v98, v99, v98
	v_mov_b32_e32 v99, v115
	v_add_f32_e32 v100, v106, v100
	v_mul_f32_e32 v106, 0xbf6f5d39, v66
	v_fmac_f32_e32 v99, 0xbf3f9e67, v35
	v_mul_f32_e32 v116, 0x3f52af12, v76
	v_mov_b32_e32 v66, v106
	v_mul_f32_e32 v71, 0x3f29c268, v71
	v_add_f32_e32 v98, v99, v98
	v_mov_b32_e32 v99, v116
	v_fmac_f32_e32 v66, 0xbeb58ec6, v31
	v_mov_b32_e32 v108, v71
	v_fmac_f32_e32 v99, 0x3f116cb1, v38
	v_mul_f32_e32 v117, 0xbf6f5d39, v82
	v_add_f32_e32 v66, v66, v1
	v_fmac_f32_e32 v108, 0xbf3f9e67, v33
	v_mul_f32_e32 v74, 0x3eedf032, v74
	v_add_f32_e32 v98, v99, v98
	v_mov_b32_e32 v99, v117
	v_add_f32_e32 v66, v108, v66
	v_mov_b32_e32 v108, v74
	v_fmac_f32_e32 v99, 0xbeb58ec6, v42
	v_mul_f32_e32 v118, 0x3f7e222b, v91
	v_fmac_f32_e32 v108, 0x3f62ad3f, v35
	v_add_f32_e32 v98, v99, v98
	v_mov_b32_e32 v99, v118
	v_add_f32_e32 v66, v108, v66
	v_mul_f32_e32 v108, 0xbf7e222b, v76
	v_fmac_f32_e32 v99, 0x3df6dbef, v48
	v_mul_f32_e32 v119, 0xbe750f2a, v58
	v_mov_b32_e32 v76, v108
	v_add_f32_e32 v99, v99, v98
	v_fma_f32 v98, v30, s18, -v119
	v_mul_f32_e32 v120, 0x3eedf032, v67
	v_fmac_f32_e32 v76, 0x3df6dbef, v38
	v_mul_f32_e32 v82, 0x3e750f2a, v82
	v_add_f32_e32 v98, v98, v0
	v_fma_f32 v121, v32, s10, -v120
	v_mul_f32_e32 v104, 0x3df6dbef, v31
	v_add_f32_e32 v66, v76, v66
	v_mov_b32_e32 v76, v82
	v_add_f32_e32 v98, v121, v98
	v_mul_f32_e32 v121, 0xbf29c268, v72
	v_fmac_f32_e32 v76, 0xbf788fa5, v42
	v_mul_f32_e32 v91, 0x3f52af12, v91
	v_mul_f32_e32 v111, 0x3f29c268, v67
	v_add_f32_e32 v67, v89, v104
	v_mul_f32_e32 v89, 0xbf788fa5, v33
	v_fma_f32 v122, v34, s19, -v121
	v_add_f32_e32 v66, v76, v66
	v_mov_b32_e32 v76, v91
	v_mul_f32_e32 v110, 0xbf6f5d39, v58
	v_add_f32_e32 v89, v90, v89
	v_add_f32_e32 v67, v67, v1
	;; [unrolled: 1-line block ×3, first 2 shown]
	v_mul_f32_e32 v122, 0x3f52af12, v75
	v_fmac_f32_e32 v76, 0x3f116cb1, v48
	v_fma_f32 v58, v30, s17, -v110
	v_add_f32_e32 v67, v89, v67
	v_mul_f32_e32 v89, 0xbeb58ec6, v35
	v_fma_f32 v123, v36, s11, -v122
	v_add_f32_e32 v76, v76, v66
	v_add_f32_e32 v58, v58, v0
	v_fma_f32 v66, v32, s19, -v111
	v_mul_f32_e32 v72, 0x3eedf032, v72
	v_add_f32_e32 v89, v92, v89
	v_add_f32_e32 v98, v123, v98
	v_mul_f32_e32 v123, 0xbf6f5d39, v77
	v_add_f32_e32 v58, v66, v58
	v_fma_f32 v66, v34, s10, -v72
	v_mul_f32_e32 v112, 0xbf7e222b, v75
	v_add_f32_e32 v67, v89, v67
	v_mul_f32_e32 v89, 0x3f62ad3f, v38
	v_fma_f32 v124, v39, s17, -v123
	v_add_f32_e32 v58, v66, v58
	v_fma_f32 v66, v36, s16, -v112
	v_mul_f32_e32 v77, 0x3e750f2a, v77
	v_add_f32_e32 v89, v93, v89
	v_add_f32_e32 v98, v124, v98
	v_mul_f32_e32 v124, 0x3f7e222b, v87
	v_add_f32_e32 v58, v66, v58
	v_fma_f32 v66, v39, s18, -v77
	v_mul_f32_e32 v87, 0x3f52af12, v87
	v_add_f32_e32 v67, v89, v67
	v_mul_f32_e32 v89, 0x3f116cb1, v42
	v_mul_f32_e32 v103, 0x3df6dbef, v30
	v_add_f32_e32 v58, v66, v58
	v_fma_f32 v66, v44, s11, -v87
	v_add_f32_e32 v89, v94, v89
	v_add_f32_e32 v75, v66, v58
	v_mul_f32_e32 v66, 0xbf788fa5, v32
	v_add_f32_e32 v67, v89, v67
	v_mul_f32_e32 v89, 0xbf3f9e67, v48
	v_sub_f32_e32 v78, v103, v78
	v_add_f32_e32 v89, v95, v89
	v_mul_f32_e32 v95, 0xbeb58ec6, v34
	v_sub_f32_e32 v66, v66, v79
	v_add_f32_e32 v78, v78, v0
	v_add_f32_e32 v66, v66, v78
	v_sub_f32_e32 v80, v95, v80
	v_add_f32_e32 v66, v80, v66
	v_mul_f32_e32 v80, 0x3f62ad3f, v36
	v_sub_f32_e32 v80, v80, v81
	v_mul_f32_e32 v127, 0x3f116cb1, v31
	v_add_f32_e32 v66, v80, v66
	v_mul_f32_e32 v80, 0x3f116cb1, v39
	v_mul_f32_e32 v58, 0xbeb58ec6, v33
	v_sub_f32_e32 v80, v80, v86
	v_add_f32_e32 v46, v46, v127
	v_mul_f32_e32 v94, 0xbf788fa5, v35
	v_add_f32_e32 v66, v80, v66
	v_mul_f32_e32 v80, 0xbf3f9e67, v44
	v_add_f32_e32 v51, v51, v58
	v_add_f32_e32 v46, v46, v1
	v_mul_f32_e32 v95, 0xbf3f9e67, v38
	v_sub_f32_e32 v80, v80, v88
	v_add_f32_e32 v46, v51, v46
	v_add_f32_e32 v55, v55, v94
	;; [unrolled: 1-line block ×3, first 2 shown]
	v_mul_f32_e32 v80, 0x3df6dbef, v42
	v_add_f32_e32 v46, v55, v46
	v_add_f32_e32 v55, v63, v95
	v_mul_f32_e32 v126, 0x3f116cb1, v30
	v_mul_f32_e32 v51, 0x3f62ad3f, v48
	v_add_f32_e32 v46, v55, v46
	v_add_f32_e32 v55, v69, v80
	v_mul_f32_e32 v109, 0xbeb58ec6, v32
	v_add_f32_e32 v46, v55, v46
	v_add_f32_e32 v51, v73, v51
	v_sub_f32_e32 v43, v126, v43
	v_mul_f32_e32 v93, 0xbf788fa5, v34
	v_add_f32_e32 v58, v51, v46
	v_add_f32_e32 v43, v43, v0
	v_sub_f32_e32 v46, v109, v49
	v_add_f32_e32 v2, v2, v0
	v_mul_f32_e32 v78, 0xbf3f9e67, v36
	v_add_f32_e32 v43, v46, v43
	v_sub_f32_e32 v46, v93, v53
	v_add_f32_e32 v3, v3, v1
	v_add_f32_e32 v2, v8, v2
	v_fma_f32 v125, v44, s16, -v124
	v_mul_f32_e32 v88, 0x3df6dbef, v39
	v_add_f32_e32 v43, v46, v43
	v_sub_f32_e32 v46, v78, v57
	v_add_f32_e32 v3, v9, v3
	v_add_f32_e32 v2, v10, v2
	;; [unrolled: 1-line block ×3, first 2 shown]
	v_mul_f32_e32 v125, 0x3f62ad3f, v31
	v_mul_f32_e32 v127, 0x3f62ad3f, v44
	v_add_f32_e32 v43, v46, v43
	v_sub_f32_e32 v46, v88, v65
	v_add_f32_e32 v3, v11, v3
	v_add_f32_e32 v2, v12, v2
	v_mul_f32_e32 v107, 0x3f116cb1, v33
	v_add_f32_e32 v43, v46, v43
	v_sub_f32_e32 v46, v127, v70
	v_add_f32_e32 v40, v40, v125
	v_add_f32_e32 v3, v13, v3
	;; [unrolled: 1-line block ×3, first 2 shown]
	v_mul_f32_e32 v92, 0x3df6dbef, v35
	v_add_f32_e32 v57, v46, v43
	v_add_f32_e32 v40, v40, v1
	;; [unrolled: 1-line block ×5, first 2 shown]
	v_fma_f32 v4, v31, s18, -v113
	v_mul_f32_e32 v79, 0xbeb58ec6, v38
	v_add_f32_e32 v40, v43, v40
	v_add_f32_e32 v43, v50, v92
	;; [unrolled: 1-line block ×4, first 2 shown]
	v_fma_f32 v5, v33, s10, -v114
	v_mul_f32_e32 v86, 0xbf3f9e67, v42
	v_add_f32_e32 v40, v43, v40
	v_add_f32_e32 v43, v54, v79
	;; [unrolled: 1-line block ×3, first 2 shown]
	v_fma_f32 v5, v35, s19, -v115
	v_mul_f32_e32 v102, 0x3f62ad3f, v30
	v_mul_f32_e32 v104, 0xbf788fa5, v48
	v_add_f32_e32 v40, v43, v40
	v_add_f32_e32 v43, v59, v86
	;; [unrolled: 1-line block ×3, first 2 shown]
	v_fma_f32 v5, v38, s11, -v116
	v_mul_f32_e32 v105, 0x3f116cb1, v32
	v_add_f32_e32 v40, v43, v40
	v_add_f32_e32 v43, v68, v104
	v_sub_f32_e32 v37, v102, v37
	v_add_f32_e32 v2, v6, v2
	v_add_f32_e32 v4, v5, v4
	v_fma_f32 v5, v42, s17, -v117
	v_fma_f32 v6, v31, s17, -v106
	v_mul_f32_e32 v90, 0x3df6dbef, v34
	v_add_f32_e32 v46, v43, v40
	v_add_f32_e32 v37, v37, v0
	v_sub_f32_e32 v40, v105, v41
	v_add_f32_e32 v3, v7, v3
	v_add_f32_e32 v4, v5, v4
	v_fma_f32 v5, v48, s16, -v118
	v_fmac_f32_e32 v119, 0xbf788fa5, v30
	v_add_f32_e32 v1, v6, v1
	v_fma_f32 v6, v33, s19, -v71
	v_fmac_f32_e32 v110, 0xbeb58ec6, v30
	v_mul_f32_e32 v103, 0xbeb58ec6, v36
	v_add_f32_e32 v37, v40, v37
	v_sub_f32_e32 v40, v90, v47
	v_add_f32_e32 v3, v17, v3
	v_add_f32_e32 v2, v16, v2
	;; [unrolled: 1-line block ×4, first 2 shown]
	v_fmac_f32_e32 v120, 0x3f62ad3f, v32
	v_add_f32_e32 v1, v6, v1
	v_fma_f32 v6, v35, s10, -v74
	v_add_f32_e32 v0, v110, v0
	v_fmac_f32_e32 v111, 0xbf3f9e67, v32
	v_mul_f32_e32 v81, 0xbf3f9e67, v39
	v_add_f32_e32 v37, v40, v37
	v_sub_f32_e32 v40, v103, v52
	v_add_f32_e32 v3, v19, v3
	v_add_f32_e32 v2, v18, v2
	;; [unrolled: 1-line block ×3, first 2 shown]
	v_fmac_f32_e32 v121, 0xbf3f9e67, v34
	v_add_f32_e32 v1, v6, v1
	v_fma_f32 v6, v38, s16, -v108
	v_add_f32_e32 v0, v111, v0
	v_fmac_f32_e32 v72, 0x3f62ad3f, v34
	v_add_f32_e32 v67, v89, v67
	v_mul_f32_e32 v89, 0xbf788fa5, v44
	v_add_f32_e32 v37, v40, v37
	v_sub_f32_e32 v40, v81, v56
	v_add_f32_e32 v3, v21, v3
	v_add_f32_e32 v2, v20, v2
	;; [unrolled: 1-line block ×3, first 2 shown]
	v_fmac_f32_e32 v122, 0x3f116cb1, v36
	v_add_f32_e32 v1, v6, v1
	v_fma_f32 v6, v42, s18, -v82
	v_add_f32_e32 v0, v72, v0
	v_fmac_f32_e32 v112, 0x3df6dbef, v36
	v_add_f32_e32 v37, v40, v37
	v_sub_f32_e32 v40, v89, v64
	v_add_f32_e32 v3, v23, v3
	v_add_f32_e32 v2, v22, v2
	v_add_f32_e32 v4, v122, v4
	v_fmac_f32_e32 v123, 0xbeb58ec6, v39
	v_add_f32_e32 v1, v6, v1
	v_fma_f32 v6, v48, s11, -v91
	v_add_f32_e32 v0, v112, v0
	v_fmac_f32_e32 v77, 0xbf788fa5, v39
	v_add_f32_e32 v45, v40, v37
	v_add_f32_e32 v3, v29, v3
	;; [unrolled: 1-line block ×4, first 2 shown]
	v_fmac_f32_e32 v124, 0x3df6dbef, v44
	v_add_f32_e32 v1, v6, v1
	v_add_f32_e32 v0, v77, v0
	v_fmac_f32_e32 v87, 0x3f116cb1, v44
	v_lshlrev_b32_e32 v6, 3, v85
	v_add_f32_e32 v4, v124, v4
	v_add_f32_e32 v0, v87, v0
	ds_write2_b64 v6, v[2:3], v[45:46] offset1:1
	ds_write2_b64 v6, v[57:58], v[66:67] offset0:2 offset1:3
	ds_write2_b64 v6, v[75:76], v[100:101] offset0:4 offset1:5
	;; [unrolled: 1-line block ×5, first 2 shown]
	ds_write_b64 v6, v[61:62] offset:96
.LBB0_7:
	s_or_b64 exec, exec, s[2:3]
	v_add_u32_e32 v8, 0x1e00, v83
	s_waitcnt lgkmcnt(0)
	s_barrier
	v_add_u32_e32 v0, 0x1300, v83
	ds_read2_b64 v[12:15], v8 offset0:54 offset1:210
	v_add_u32_e32 v8, 0x800, v83
	v_add_u32_e32 v16, 0x2800, v83
	ds_read2_b64 v[4:7], v83 offset1:156
	ds_read2_b64 v[0:3], v0 offset0:16 offset1:250
	ds_read2_b64 v[8:11], v8 offset0:56 offset1:212
	;; [unrolled: 1-line block ×3, first 2 shown]
	s_movk_i32 s2, 0x4e
	v_cmp_gt_u16_e64 s[2:3], s2, v84
	s_and_saveexec_b64 s[4:5], s[2:3]
	s_cbranch_execz .LBB0_9
; %bb.8:
	ds_read_b64 v[26:27], v83 offset:6240
	ds_read_b64 v[24:25], v83 offset:13104
.LBB0_9:
	s_or_b64 exec, exec, s[4:5]
	s_movk_i32 s4, 0x1d4
	v_add_co_u32_e32 v21, vcc, s4, v84
	s_movk_i32 s4, 0x270
	v_add_co_u32_e32 v22, vcc, s4, v84
	;; [unrolled: 2-line block ×3, first 2 shown]
	v_mul_lo_u16_sdwa v23, v84, s4 dst_sel:DWORD dst_unused:UNUSED_PAD src0_sel:BYTE_0 src1_sel:DWORD
	s_movk_i32 s4, 0x4ec5
	v_mul_u32_u24_sdwa v29, v20, s4 dst_sel:DWORD dst_unused:UNUSED_PAD src0_sel:WORD_0 src1_sel:DWORD
	v_lshrrev_b32_e32 v34, 18, v29
	v_lshrrev_b16_e32 v30, 10, v23
	v_add_u16_e32 v40, 0x9c, v84
	v_mul_lo_u16_e32 v29, 13, v34
	v_mul_lo_u16_e32 v23, 13, v30
	v_mul_u32_u24_e32 v28, 0x4ec5, v40
	v_sub_u16_e32 v35, v20, v29
	v_mul_u32_u24_sdwa v29, v21, s4 dst_sel:DWORD dst_unused:UNUSED_PAD src0_sel:WORD_0 src1_sel:DWORD
	v_sub_u16_e32 v23, v84, v23
	v_lshrrev_b32_e32 v32, 18, v28
	v_lshrrev_b32_e32 v36, 18, v29
	v_and_b32_e32 v31, 0xff, v23
	v_mul_lo_u16_e32 v28, 13, v32
	v_mul_lo_u16_e32 v29, 13, v36
	v_lshlrev_b32_e32 v23, 3, v31
	v_sub_u16_e32 v33, v40, v28
	v_lshlrev_b32_e32 v20, 3, v35
	v_sub_u16_e32 v37, v21, v29
	v_lshlrev_b32_e32 v28, 3, v33
	v_lshlrev_b32_e32 v21, 3, v37
	global_load_dwordx2 v[71:72], v23, s[14:15]
	global_load_dwordx2 v[69:70], v28, s[14:15]
	;; [unrolled: 1-line block ×4, first 2 shown]
	v_mul_u32_u24_sdwa v20, v22, s4 dst_sel:DWORD dst_unused:UNUSED_PAD src0_sel:WORD_0 src1_sel:DWORD
	v_lshrrev_b32_e32 v38, 18, v20
	v_mul_lo_u16_e32 v20, 13, v38
	v_add_u16_e32 v21, 0x30c, v84
	v_sub_u16_e32 v39, v22, v20
	v_mul_u32_u24_e32 v22, 0x4ec5, v21
	v_lshrrev_b32_e32 v88, 18, v22
	v_mul_lo_u16_e32 v22, 13, v88
	v_lshlrev_b32_e32 v20, 3, v39
	v_sub_u16_e32 v89, v21, v22
	global_load_dwordx2 v[75:76], v20, s[14:15]
	v_lshlrev_b32_e32 v20, 3, v89
	global_load_dwordx2 v[73:74], v20, s[14:15]
	s_load_dwordx4 s[8:11], s[8:9], 0x0
	s_waitcnt vmcnt(0) lgkmcnt(0)
	s_barrier
	v_mul_f32_e32 v20, v3, v72
	v_mul_f32_e32 v22, v13, v70
	v_mul_f32_e32 v23, v12, v70
	v_mul_f32_e32 v42, v16, v66
	v_mul_f32_e32 v41, v17, v66
	v_fmac_f32_e32 v42, v17, v65
	v_fma_f32 v12, v12, v69, -v22
	v_mul_f32_e32 v21, v2, v72
	v_mul_f32_e32 v28, v15, v68
	;; [unrolled: 1-line block ×3, first 2 shown]
	v_fma_f32 v2, v2, v71, -v20
	v_fmac_f32_e32 v21, v3, v71
	v_fmac_f32_e32 v23, v13, v69
	v_fma_f32 v14, v14, v67, -v28
	v_mul_f32_e32 v43, v19, v76
	v_fma_f32 v17, v18, v75, -v43
	v_mul_f32_e32 v45, v25, v74
	v_mul_f32_e32 v44, v18, v76
	;; [unrolled: 1-line block ×3, first 2 shown]
	v_fma_f32 v18, v24, v73, -v45
	v_sub_f32_e32 v24, v0, v17
	v_fma_f32 v22, v0, 2.0, -v24
	v_mul_u32_u24_e32 v0, 26, v30
	v_add_lshl_u32 v90, v0, v31, 3
	v_mad_legacy_u16 v0, v32, 26, v33
	v_lshlrev_b32_e32 v91, 3, v0
	v_mad_legacy_u16 v0, v34, 26, v35
	v_fmac_f32_e32 v29, v15, v67
	v_fma_f32 v16, v16, v65, -v41
	v_fmac_f32_e32 v44, v19, v75
	v_fmac_f32_e32 v46, v25, v73
	v_lshlrev_b32_e32 v92, 3, v0
	v_mad_legacy_u16 v0, v36, 26, v37
	v_sub_f32_e32 v2, v4, v2
	v_sub_f32_e32 v3, v5, v21
	v_sub_f32_e32 v12, v6, v12
	v_sub_f32_e32 v13, v7, v23
	v_sub_f32_e32 v14, v8, v14
	v_sub_f32_e32 v15, v9, v29
	v_sub_f32_e32 v20, v10, v16
	v_sub_f32_e32 v21, v11, v42
	v_sub_f32_e32 v25, v1, v44
	v_sub_f32_e32 v28, v26, v18
	v_sub_f32_e32 v29, v27, v46
	v_lshlrev_b32_e32 v93, 3, v0
	v_mad_legacy_u16 v0, v38, 26, v39
	v_fma_f32 v4, v4, 2.0, -v2
	v_fma_f32 v5, v5, 2.0, -v3
	;; [unrolled: 1-line block ×11, first 2 shown]
	v_lshlrev_b32_e32 v94, 3, v0
	ds_write2_b64 v90, v[4:5], v[2:3] offset1:13
	ds_write2_b64 v91, v[6:7], v[12:13] offset1:13
	;; [unrolled: 1-line block ×5, first 2 shown]
	s_and_saveexec_b64 s[4:5], s[2:3]
	s_cbranch_execz .LBB0_11
; %bb.10:
	v_mad_legacy_u16 v0, v88, 26, v89
	v_lshlrev_b32_e32 v0, 3, v0
	ds_write2_b64 v0, v[26:27], v[28:29] offset1:13
.LBB0_11:
	s_or_b64 exec, exec, s[4:5]
	s_waitcnt lgkmcnt(0)
	s_barrier
	ds_read_b64 v[18:19], v83
	ds_read_b64 v[38:39], v83 offset:2288
	ds_read_b64 v[36:37], v83 offset:4576
	;; [unrolled: 1-line block ×5, first 2 shown]
	s_movk_i32 s4, 0x82
	v_cmp_gt_u16_e64 s[4:5], s4, v84
	s_and_saveexec_b64 s[16:17], s[4:5]
	s_cbranch_execz .LBB0_13
; %bb.12:
	ds_read_b64 v[16:17], v83 offset:1248
	ds_read_b64 v[20:21], v83 offset:3536
	;; [unrolled: 1-line block ×6, first 2 shown]
.LBB0_13:
	s_or_b64 exec, exec, s[16:17]
	s_movk_i32 s16, 0x4f
	v_mul_u32_u24_e32 v0, 0x4ec5, v40
	v_mul_lo_u16_sdwa v4, v84, s16 dst_sel:DWORD dst_unused:UNUSED_PAD src0_sel:BYTE_0 src1_sel:DWORD
	v_lshrrev_b32_e32 v86, 19, v0
	v_lshrrev_b16_e32 v55, 11, v4
	v_mul_lo_u16_e32 v0, 26, v86
	v_mul_lo_u16_e32 v4, 26, v55
	v_sub_u16_e32 v87, v40, v0
	v_sub_u16_e32 v4, v84, v4
	v_mul_lo_u16_e32 v0, 40, v87
	v_and_b32_e32 v56, 0xff, v4
	v_mov_b32_e32 v1, s15
	v_add_co_u32_e32 v40, vcc, s14, v0
	v_mad_u64_u32 v[42:43], s[16:17], v56, 40, s[14:15]
	v_addc_co_u32_e32 v41, vcc, 0, v1, vcc
	global_load_dwordx2 v[63:64], v[40:41], off offset:136
	global_load_dwordx4 v[0:3], v[40:41], off offset:120
	global_load_dwordx4 v[12:15], v[42:43], off offset:104
	;; [unrolled: 1-line block ×3, first 2 shown]
	global_load_dwordx2 v[77:78], v[42:43], off offset:136
	global_load_dwordx4 v[4:7], v[40:41], off offset:104
	s_movk_i32 s18, 0x9c
	s_waitcnt vmcnt(0) lgkmcnt(0)
	s_barrier
	v_mul_f32_e32 v48, v38, v13
	v_mul_f32_e32 v45, v29, v64
	;; [unrolled: 1-line block ×5, first 2 shown]
	v_fmac_f32_e32 v40, v25, v0
	v_fma_f32 v25, v26, v2, -v44
	v_mul_f32_e32 v44, v36, v15
	v_mul_f32_e32 v46, v34, v9
	;; [unrolled: 1-line block ×6, first 2 shown]
	v_fma_f32 v24, v24, v0, -v43
	v_fma_f32 v26, v28, v63, -v45
	v_mul_f32_e32 v43, v37, v15
	v_mul_f32_e32 v45, v35, v9
	;; [unrolled: 1-line block ×4, first 2 shown]
	v_fmac_f32_e32 v44, v37, v14
	v_fmac_f32_e32 v46, v35, v8
	;; [unrolled: 1-line block ×5, first 2 shown]
	v_mul_f32_e32 v29, v39, v13
	v_mul_f32_e32 v28, v22, v7
	v_fmac_f32_e32 v48, v39, v12
	v_fma_f32 v36, v36, v14, -v43
	v_fma_f32 v34, v34, v8, -v45
	;; [unrolled: 1-line block ×4, first 2 shown]
	v_sub_f32_e32 v31, v44, v49
	v_add_f32_e32 v33, v19, v44
	v_add_f32_e32 v35, v44, v49
	;; [unrolled: 1-line block ×3, first 2 shown]
	v_fmac_f32_e32 v41, v27, v2
	v_mul_f32_e32 v27, v20, v5
	v_mul_f32_e32 v53, v23, v7
	v_fma_f32 v29, v38, v12, -v29
	v_fmac_f32_e32 v28, v23, v6
	v_add_f32_e32 v23, v36, v32
	v_add_f32_e32 v38, v34, v30
	;; [unrolled: 1-line block ×3, first 2 shown]
	v_fmac_f32_e32 v48, -0.5, v44
	v_mul_f32_e32 v52, v21, v5
	v_fmac_f32_e32 v27, v21, v4
	v_fma_f32 v21, v22, v6, -v53
	v_add_f32_e32 v22, v18, v36
	v_add_f32_e32 v37, v29, v34
	v_sub_f32_e32 v34, v34, v30
	v_fma_f32 v18, -0.5, v23, v18
	v_fmac_f32_e32 v29, -0.5, v38
	v_mov_b32_e32 v38, v48
	v_sub_f32_e32 v39, v46, v51
	v_add_f32_e32 v23, v33, v49
	v_fmac_f32_e32 v19, -0.5, v35
	v_add_f32_e32 v30, v37, v30
	v_mov_b32_e32 v33, v18
	v_mov_b32_e32 v37, v29
	v_fmac_f32_e32 v38, 0xbf5db3d7, v34
	v_sub_f32_e32 v36, v36, v32
	v_add_f32_e32 v22, v22, v32
	v_add_f32_e32 v32, v43, v51
	v_fmac_f32_e32 v18, 0xbf5db3d7, v31
	v_mov_b32_e32 v35, v19
	v_fmac_f32_e32 v29, 0xbf5db3d7, v39
	v_fmac_f32_e32 v48, 0x3f5db3d7, v34
	;; [unrolled: 1-line block ×4, first 2 shown]
	v_mul_f32_e32 v31, 0x3f5db3d7, v38
	v_fma_f32 v20, v20, v4, -v52
	v_fmac_f32_e32 v19, 0x3f5db3d7, v36
	v_fmac_f32_e32 v35, 0xbf5db3d7, v36
	v_fmac_f32_e32 v31, 0.5, v37
	v_mul_f32_e32 v34, -0.5, v29
	v_add_f32_e32 v44, v23, v32
	v_mul_f32_e32 v36, 0xbf5db3d7, v37
	v_mul_f32_e32 v37, -0.5, v48
	v_sub_f32_e32 v50, v23, v32
	v_add_f32_e32 v23, v24, v26
	v_fmac_f32_e32 v34, 0x3f5db3d7, v48
	v_fmac_f32_e32 v36, 0.5, v38
	v_fmac_f32_e32 v37, 0xbf5db3d7, v29
	v_fma_f32 v32, -0.5, v23, v20
	v_add_f32_e32 v23, v40, v42
	v_add_f32_e32 v47, v18, v34
	;; [unrolled: 1-line block ×4, first 2 shown]
	v_sub_f32_e32 v53, v18, v34
	v_sub_f32_e32 v52, v35, v36
	;; [unrolled: 1-line block ×4, first 2 shown]
	v_mov_b32_e32 v37, v32
	v_fma_f32 v35, -0.5, v23, v27
	v_add_f32_e32 v18, v21, v25
	v_add_f32_e32 v19, v28, v41
	v_fmac_f32_e32 v37, 0xbf5db3d7, v34
	v_sub_f32_e32 v36, v24, v26
	v_mov_b32_e32 v29, v35
	v_add_f32_e32 v43, v22, v30
	v_sub_f32_e32 v49, v22, v30
	v_fma_f32 v22, -0.5, v18, v16
	v_fma_f32 v30, -0.5, v19, v17
	v_fmac_f32_e32 v29, 0x3f5db3d7, v36
	v_mul_f32_e32 v23, -0.5, v37
	v_add_f32_e32 v45, v33, v31
	v_sub_f32_e32 v51, v33, v31
	v_sub_f32_e32 v31, v28, v41
	v_mov_b32_e32 v18, v22
	v_sub_f32_e32 v33, v21, v25
	v_mov_b32_e32 v19, v30
	v_fmac_f32_e32 v23, 0x3f5db3d7, v29
	v_mul_f32_e32 v29, -0.5, v29
	v_fmac_f32_e32 v18, 0xbf5db3d7, v31
	v_fmac_f32_e32 v19, 0x3f5db3d7, v33
	;; [unrolled: 1-line block ×3, first 2 shown]
	v_mul_u32_u24_e32 v37, 0x9c, v55
	v_sub_f32_e32 v38, v18, v23
	v_sub_f32_e32 v39, v19, v29
	v_add_lshl_u32 v95, v37, v56, 3
	ds_write2_b64 v95, v[43:44], v[45:46] offset1:26
	ds_write2_b64 v95, v[47:48], v[49:50] offset0:52 offset1:78
	ds_write2_b64 v95, v[51:52], v[53:54] offset0:104 offset1:130
	s_and_saveexec_b64 s[16:17], s[4:5]
	s_cbranch_execz .LBB0_15
; %bb.14:
	v_mul_f32_e32 v37, 0x3f5db3d7, v31
	v_mul_f32_e32 v31, 0x3f5db3d7, v33
	;; [unrolled: 1-line block ×4, first 2 shown]
	v_sub_f32_e32 v36, v30, v31
	v_sub_f32_e32 v30, v35, v34
	v_add_f32_e32 v32, v33, v32
	v_add_f32_e32 v17, v17, v28
	v_mul_f32_e32 v34, 0x3f5db3d7, v30
	v_add_f32_e32 v16, v16, v21
	v_mul_f32_e32 v31, 0x3f5db3d7, v32
	v_add_f32_e32 v28, v17, v41
	v_add_f32_e32 v17, v27, v40
	;; [unrolled: 1-line block ×3, first 2 shown]
	v_fmac_f32_e32 v34, 0.5, v32
	v_add_f32_e32 v25, v16, v25
	v_add_f32_e32 v16, v20, v24
	v_fma_f32 v33, v30, 0.5, -v31
	v_add_f32_e32 v27, v17, v42
	v_sub_f32_e32 v30, v22, v34
	v_add_f32_e32 v26, v16, v26
	v_add_f32_e32 v20, v22, v34
	v_mad_legacy_u16 v22, v86, s18, v87
	v_add_f32_e32 v21, v36, v33
	v_add_f32_e32 v24, v28, v27
	;; [unrolled: 1-line block ×4, first 2 shown]
	v_lshlrev_b32_e32 v22, 3, v22
	v_sub_f32_e32 v31, v36, v33
	v_sub_f32_e32 v17, v28, v27
	;; [unrolled: 1-line block ×3, first 2 shown]
	v_add_f32_e32 v19, v19, v29
	ds_write2_b64 v22, v[23:24], v[20:21] offset1:26
	ds_write2_b64 v22, v[18:19], v[16:17] offset0:52 offset1:78
	ds_write2_b64 v22, v[30:31], v[38:39] offset0:104 offset1:130
.LBB0_15:
	s_or_b64 exec, exec, s[16:17]
	v_mov_b32_e32 v17, s15
	s_movk_i32 s16, 0x50
	v_mov_b32_e32 v16, s14
	v_mad_u64_u32 v[36:37], s[14:15], v84, s16, v[16:17]
	s_waitcnt lgkmcnt(0)
	s_barrier
	global_load_dwordx4 v[28:31], v[36:37], off offset:1144
	global_load_dwordx4 v[24:27], v[36:37], off offset:1160
	;; [unrolled: 1-line block ×5, first 2 shown]
	ds_read2_b64 v[42:45], v83 offset1:156
	v_add_u32_e32 v96, 0x800, v83
	ds_read_b64 v[36:37], v83 offset:4992
	v_add_u32_e32 v40, 0x1800, v83
	v_add_u32_e32 v41, 0x2000, v83
	;; [unrolled: 1-line block ×3, first 2 shown]
	ds_read2_b64 v[46:49], v96 offset0:56 offset1:212
	ds_read2_b64 v[50:53], v40 offset0:12 offset1:168
	;; [unrolled: 1-line block ×4, first 2 shown]
	s_mov_b32 s14, 0x3f575c64
	s_mov_b32 s15, 0x3ed4b147
	;; [unrolled: 1-line block ×5, first 2 shown]
	s_waitcnt vmcnt(4) lgkmcnt(5)
	v_mul_f32_e32 v40, v45, v29
	v_mul_f32_e32 v41, v44, v29
	s_waitcnt lgkmcnt(3)
	v_mul_f32_e32 v58, v47, v31
	v_mul_f32_e32 v59, v46, v31
	s_waitcnt vmcnt(3)
	v_mul_f32_e32 v100, v36, v27
	s_waitcnt vmcnt(2) lgkmcnt(2)
	v_mul_f32_e32 v101, v51, v21
	v_mul_f32_e32 v102, v50, v21
	;; [unrolled: 1-line block ×3, first 2 shown]
	s_waitcnt vmcnt(0) lgkmcnt(0)
	v_mul_f32_e32 v111, v82, v35
	v_mul_f32_e32 v112, v81, v35
	v_fma_f32 v40, v44, v28, -v40
	v_fmac_f32_e32 v41, v45, v28
	v_mul_f32_e32 v97, v49, v25
	v_mul_f32_e32 v98, v48, v25
	;; [unrolled: 1-line block ×7, first 2 shown]
	v_fma_f32 v44, v46, v30, -v58
	v_fmac_f32_e32 v59, v47, v30
	v_fmac_f32_e32 v100, v37, v26
	v_fma_f32 v37, v50, v20, -v101
	v_fmac_f32_e32 v102, v51, v20
	v_fma_f32 v46, v52, v22, -v103
	v_fma_f32 v50, v81, v34, -v111
	v_fmac_f32_e32 v112, v82, v34
	v_add_f32_e32 v51, v42, v40
	v_add_f32_e32 v52, v43, v41
	v_mul_f32_e32 v108, v56, v19
	v_fma_f32 v45, v48, v24, -v97
	v_fmac_f32_e32 v98, v49, v24
	v_fmac_f32_e32 v104, v53, v22
	v_fma_f32 v47, v54, v16, -v105
	v_fmac_f32_e32 v106, v55, v16
	v_fma_f32 v48, v56, v18, -v107
	v_add_f32_e32 v53, v40, v50
	v_add_f32_e32 v54, v41, v112
	v_sub_f32_e32 v55, v40, v50
	v_sub_f32_e32 v56, v41, v112
	v_add_f32_e32 v40, v51, v44
	v_add_f32_e32 v41, v52, v59
	v_fma_f32 v36, v36, v26, -v99
	v_add_f32_e32 v40, v40, v45
	v_add_f32_e32 v41, v41, v98
	;; [unrolled: 1-line block ×8, first 2 shown]
	v_mul_f32_e32 v109, v80, v33
	v_mul_f32_e32 v110, v79, v33
	v_fmac_f32_e32 v108, v57, v18
	v_add_f32_e32 v40, v40, v47
	v_add_f32_e32 v41, v41, v106
	v_fma_f32 v49, v79, v32, -v109
	v_fmac_f32_e32 v110, v80, v32
	v_mul_f32_e32 v52, 0xbf0a6770, v55
	v_add_f32_e32 v40, v40, v48
	v_add_f32_e32 v41, v41, v108
	v_mov_b32_e32 v58, v52
	v_fma_f32 v52, v54, s14, -v52
	v_add_f32_e32 v40, v40, v49
	v_add_f32_e32 v41, v41, v110
	v_mul_f32_e32 v80, 0xbf68dda4, v55
	v_mul_f32_e32 v99, 0xbf7d64f0, v55
	;; [unrolled: 1-line block ×5, first 2 shown]
	v_add_f32_e32 v40, v40, v50
	v_add_f32_e32 v41, v41, v112
	;; [unrolled: 1-line block ×3, first 2 shown]
	v_mul_f32_e32 v52, 0xbf68dda4, v56
	v_mov_b32_e32 v81, v80
	v_mul_f32_e32 v82, 0xbf7d64f0, v56
	v_mov_b32_e32 v101, v99
	;; [unrolled: 2-line block ×4, first 2 shown]
	v_fma_f32 v57, v53, s14, -v51
	v_fmac_f32_e32 v51, 0x3f575c64, v53
	v_fmac_f32_e32 v58, 0x3f575c64, v54
	v_fma_f32 v79, v53, s15, -v52
	v_fmac_f32_e32 v81, 0x3ed4b147, v54
	v_fmac_f32_e32 v52, 0x3ed4b147, v53
	v_fma_f32 v80, v54, s15, -v80
	v_fma_f32 v97, v53, s16, -v82
	v_fmac_f32_e32 v101, 0xbe11bafb, v54
	v_fmac_f32_e32 v82, 0xbe11bafb, v53
	v_fma_f32 v99, v54, s16, -v99
	;; [unrolled: 4-line block ×4, first 2 shown]
	v_add_f32_e32 v58, v43, v58
	v_add_f32_e32 v81, v43, v81
	v_add_f32_e32 v80, v43, v80
	v_add_f32_e32 v101, v43, v101
	v_add_f32_e32 v99, v43, v99
	v_add_f32_e32 v109, v43, v109
	v_add_f32_e32 v107, v43, v107
	v_add_f32_e32 v112, v43, v112
	v_add_f32_e32 v43, v43, v53
	v_add_f32_e32 v53, v44, v49
	v_sub_f32_e32 v44, v44, v49
	v_sub_f32_e32 v49, v59, v110
	v_mul_f32_e32 v55, 0xbf68dda4, v49
	v_add_f32_e32 v57, v42, v57
	v_add_f32_e32 v51, v42, v51
	;; [unrolled: 1-line block ×10, first 2 shown]
	v_fma_f32 v56, v53, s15, -v55
	v_add_f32_e32 v54, v59, v110
	v_add_f32_e32 v56, v56, v57
	v_mul_f32_e32 v57, 0xbf68dda4, v44
	v_fmac_f32_e32 v55, 0x3ed4b147, v53
	v_mov_b32_e32 v59, v57
	v_add_f32_e32 v51, v55, v51
	v_fma_f32 v55, v54, s15, -v57
	v_fmac_f32_e32 v59, 0x3ed4b147, v54
	v_add_f32_e32 v50, v55, v50
	v_mul_f32_e32 v55, 0xbf4178ce, v49
	v_add_f32_e32 v58, v59, v58
	v_fma_f32 v57, v53, s17, -v55
	v_mul_f32_e32 v59, 0xbf4178ce, v44
	v_add_f32_e32 v57, v57, v79
	v_mov_b32_e32 v79, v59
	v_fmac_f32_e32 v55, 0xbf27a4f4, v53
	v_fmac_f32_e32 v79, 0xbf27a4f4, v54
	v_add_f32_e32 v52, v55, v52
	v_fma_f32 v55, v54, s17, -v59
	v_mul_f32_e32 v59, 0x3e903f40, v49
	v_add_f32_e32 v79, v79, v81
	v_add_f32_e32 v55, v55, v80
	v_fma_f32 v80, v53, s18, -v59
	v_mul_f32_e32 v81, 0x3e903f40, v44
	v_add_f32_e32 v80, v80, v97
	v_mov_b32_e32 v97, v81
	v_fmac_f32_e32 v59, 0xbf75a155, v53
	v_fmac_f32_e32 v97, 0xbf75a155, v54
	v_add_f32_e32 v59, v59, v82
	v_fma_f32 v81, v54, s18, -v81
	v_mul_f32_e32 v82, 0x3f7d64f0, v49
	v_add_f32_e32 v97, v97, v101
	v_add_f32_e32 v81, v81, v99
	v_fma_f32 v99, v53, s16, -v82
	v_mul_f32_e32 v101, 0x3f7d64f0, v44
	v_add_f32_e32 v99, v99, v105
	v_mov_b32_e32 v105, v101
	v_fma_f32 v101, v54, s16, -v101
	v_mul_f32_e32 v44, 0x3f0a6770, v44
	v_add_f32_e32 v101, v101, v107
	v_mov_b32_e32 v107, v44
	v_fma_f32 v44, v54, s14, -v44
	v_fmac_f32_e32 v82, 0xbe11bafb, v53
	v_mul_f32_e32 v49, 0x3f0a6770, v49
	v_add_f32_e32 v43, v44, v43
	v_add_f32_e32 v44, v45, v48
	v_sub_f32_e32 v45, v45, v48
	v_sub_f32_e32 v48, v98, v108
	v_add_f32_e32 v82, v82, v103
	v_fma_f32 v103, v53, s14, -v49
	v_fmac_f32_e32 v49, 0x3f575c64, v53
	v_mul_f32_e32 v53, 0xbf7d64f0, v48
	v_fmac_f32_e32 v105, 0xbe11bafb, v54
	v_fmac_f32_e32 v107, 0x3f575c64, v54
	v_fma_f32 v54, v44, s16, -v53
	v_add_f32_e32 v42, v49, v42
	v_add_f32_e32 v49, v98, v108
	;; [unrolled: 1-line block ×3, first 2 shown]
	v_mul_f32_e32 v56, 0xbf7d64f0, v45
	v_fmac_f32_e32 v53, 0xbe11bafb, v44
	v_add_f32_e32 v51, v53, v51
	v_fma_f32 v53, v49, s16, -v56
	v_add_f32_e32 v50, v53, v50
	v_mul_f32_e32 v53, 0x3e903f40, v48
	v_mov_b32_e32 v98, v56
	v_fma_f32 v56, v44, s18, -v53
	v_add_f32_e32 v56, v56, v57
	v_mul_f32_e32 v57, 0x3e903f40, v45
	v_fmac_f32_e32 v53, 0xbf75a155, v44
	v_add_f32_e32 v52, v53, v52
	v_fma_f32 v53, v49, s18, -v57
	v_fmac_f32_e32 v98, 0xbe11bafb, v49
	v_add_f32_e32 v53, v53, v55
	v_mul_f32_e32 v55, 0x3f68dda4, v48
	v_add_f32_e32 v58, v98, v58
	v_mov_b32_e32 v98, v57
	v_fma_f32 v57, v44, s15, -v55
	v_fmac_f32_e32 v98, 0xbf75a155, v49
	v_add_f32_e32 v57, v57, v80
	v_mul_f32_e32 v80, 0x3f68dda4, v45
	v_add_f32_e32 v79, v98, v79
	v_mov_b32_e32 v98, v80
	v_fmac_f32_e32 v55, 0x3ed4b147, v44
	v_fmac_f32_e32 v98, 0x3ed4b147, v49
	v_add_f32_e32 v55, v55, v59
	v_fma_f32 v59, v49, s15, -v80
	v_mul_f32_e32 v80, 0xbf0a6770, v48
	v_add_f32_e32 v97, v98, v97
	v_add_f32_e32 v59, v59, v81
	v_fma_f32 v81, v44, s14, -v80
	v_mul_f32_e32 v98, 0xbf0a6770, v45
	v_fmac_f32_e32 v80, 0x3f575c64, v44
	v_mul_f32_e32 v48, 0xbf4178ce, v48
	v_mul_f32_e32 v45, 0xbf4178ce, v45
	v_add_f32_e32 v81, v81, v99
	v_mov_b32_e32 v99, v98
	v_add_f32_e32 v80, v80, v82
	v_fma_f32 v82, v49, s14, -v98
	v_fma_f32 v98, v44, s17, -v48
	v_fmac_f32_e32 v48, 0xbf27a4f4, v44
	v_fma_f32 v44, v49, s17, -v45
	v_add_f32_e32 v43, v44, v43
	v_add_f32_e32 v44, v36, v47
	v_sub_f32_e32 v36, v36, v47
	v_sub_f32_e32 v47, v100, v106
	v_add_f32_e32 v82, v82, v101
	v_mov_b32_e32 v101, v45
	v_add_f32_e32 v42, v48, v42
	v_mul_f32_e32 v48, 0xbf4178ce, v47
	v_fmac_f32_e32 v99, 0x3f575c64, v49
	v_fmac_f32_e32 v101, 0xbf27a4f4, v49
	v_fma_f32 v49, v44, s17, -v48
	v_add_f32_e32 v45, v100, v106
	v_add_f32_e32 v49, v49, v54
	v_mul_f32_e32 v54, 0xbf4178ce, v36
	v_fmac_f32_e32 v48, 0xbf27a4f4, v44
	v_add_f32_e32 v48, v48, v51
	v_fma_f32 v51, v45, s17, -v54
	v_add_f32_e32 v50, v51, v50
	v_mul_f32_e32 v51, 0x3f7d64f0, v47
	v_mov_b32_e32 v100, v54
	v_fma_f32 v54, v44, s16, -v51
	v_add_f32_e32 v54, v54, v56
	v_mul_f32_e32 v56, 0x3f7d64f0, v36
	v_fmac_f32_e32 v51, 0xbe11bafb, v44
	v_add_f32_e32 v51, v51, v52
	v_fma_f32 v52, v45, s16, -v56
	v_fmac_f32_e32 v100, 0xbf27a4f4, v45
	v_add_f32_e32 v52, v52, v53
	v_mul_f32_e32 v53, 0xbf0a6770, v47
	v_add_f32_e32 v58, v100, v58
	v_mov_b32_e32 v100, v56
	v_fma_f32 v56, v44, s14, -v53
	v_fmac_f32_e32 v100, 0xbe11bafb, v45
	v_add_f32_e32 v56, v56, v57
	v_mul_f32_e32 v57, 0xbf0a6770, v36
	v_fmac_f32_e32 v53, 0x3f575c64, v44
	v_add_f32_e32 v79, v100, v79
	v_mov_b32_e32 v100, v57
	v_add_f32_e32 v53, v53, v55
	v_fma_f32 v55, v45, s14, -v57
	v_mul_f32_e32 v57, 0xbe903f40, v47
	v_add_f32_e32 v55, v55, v59
	v_fma_f32 v59, v44, s18, -v57
	v_add_f32_e32 v59, v59, v81
	v_mul_f32_e32 v81, 0xbe903f40, v36
	v_fmac_f32_e32 v57, 0xbf75a155, v44
	v_fmac_f32_e32 v100, 0x3f575c64, v45
	v_add_f32_e32 v57, v57, v80
	v_fma_f32 v80, v45, s18, -v81
	v_mul_f32_e32 v36, 0x3f68dda4, v36
	v_add_f32_e32 v105, v105, v109
	v_add_f32_e32 v103, v103, v111
	;; [unrolled: 1-line block ×4, first 2 shown]
	v_mov_b32_e32 v100, v81
	v_add_f32_e32 v80, v80, v82
	v_mov_b32_e32 v82, v36
	v_add_f32_e32 v99, v99, v105
	v_add_f32_e32 v98, v98, v103
	;; [unrolled: 1-line block ×3, first 2 shown]
	v_fmac_f32_e32 v100, 0xbf75a155, v45
	v_fmac_f32_e32 v82, 0x3ed4b147, v45
	v_fma_f32 v36, v45, s15, -v36
	v_add_f32_e32 v103, v102, v104
	v_sub_f32_e32 v102, v102, v104
	v_add_f32_e32 v99, v100, v99
	v_mul_f32_e32 v47, 0x3f68dda4, v47
	v_add_f32_e32 v82, v82, v101
	v_add_f32_e32 v100, v36, v43
	;; [unrolled: 1-line block ×3, first 2 shown]
	v_mul_f32_e32 v36, 0xbe903f40, v102
	v_fma_f32 v81, v44, s15, -v47
	v_fmac_f32_e32 v47, 0x3ed4b147, v44
	v_sub_f32_e32 v105, v37, v46
	v_fma_f32 v37, v101, s18, -v36
	v_add_f32_e32 v81, v81, v98
	v_add_f32_e32 v98, v47, v42
	;; [unrolled: 1-line block ×3, first 2 shown]
	v_mul_f32_e32 v37, 0xbe903f40, v105
	v_mul_f32_e32 v46, 0x3f0a6770, v102
	v_mov_b32_e32 v43, v37
	v_fma_f32 v37, v103, s18, -v37
	v_fma_f32 v44, v101, s14, -v46
	v_mul_f32_e32 v47, 0x3f0a6770, v105
	v_fmac_f32_e32 v46, 0x3f575c64, v101
	v_fmac_f32_e32 v36, 0xbf75a155, v101
	v_add_f32_e32 v37, v37, v50
	v_add_f32_e32 v44, v44, v54
	;; [unrolled: 1-line block ×3, first 2 shown]
	v_fma_f32 v46, v103, s14, -v47
	v_mul_f32_e32 v49, 0xbf4178ce, v105
	v_mul_f32_e32 v54, 0x3f68dda4, v102
	v_fmac_f32_e32 v43, 0xbf75a155, v103
	v_add_f32_e32 v36, v36, v48
	v_mov_b32_e32 v45, v47
	v_add_f32_e32 v51, v46, v52
	v_mul_f32_e32 v48, 0xbf4178ce, v102
	v_mov_b32_e32 v47, v49
	v_fma_f32 v49, v103, s17, -v49
	v_fma_f32 v52, v101, s15, -v54
	v_fmac_f32_e32 v54, 0x3ed4b147, v101
	v_add_f32_e32 v43, v43, v58
	v_fma_f32 v46, v101, s17, -v48
	v_fmac_f32_e32 v48, 0xbf27a4f4, v101
	v_add_f32_e32 v49, v49, v55
	v_mul_f32_e32 v55, 0x3f68dda4, v105
	v_add_f32_e32 v58, v54, v57
	v_mul_f32_e32 v57, 0xbf7d64f0, v105
	v_add_f32_e32 v46, v46, v56
	v_add_f32_e32 v48, v48, v53
	v_mov_b32_e32 v53, v55
	v_fma_f32 v54, v103, s15, -v55
	v_mul_f32_e32 v56, 0xbf7d64f0, v102
	v_mov_b32_e32 v55, v57
	v_fmac_f32_e32 v45, 0x3f575c64, v103
	v_fmac_f32_e32 v47, 0xbf27a4f4, v103
	v_add_f32_e32 v52, v52, v59
	v_fmac_f32_e32 v53, 0x3ed4b147, v103
	v_add_f32_e32 v59, v54, v80
	v_fma_f32 v54, v101, s16, -v56
	v_fmac_f32_e32 v55, 0xbe11bafb, v103
	v_fmac_f32_e32 v56, 0xbe11bafb, v101
	v_fma_f32 v57, v103, s16, -v57
	v_add_f32_e32 v45, v45, v79
	v_add_f32_e32 v47, v47, v97
	;; [unrolled: 1-line block ×7, first 2 shown]
	v_add_u32_e32 v80, 0x1c00, v83
	v_add_u32_e32 v79, 0x2400, v83
	ds_write2_b64 v83, v[40:41], v[42:43] offset1:156
	ds_write2_b64 v96, v[44:45], v[46:47] offset0:56 offset1:212
	ds_write_b64 v83, v[52:53] offset:4992
	ds_write_b64 v83, v[54:55] offset:6240
	ds_write2_b64 v80, v[56:57], v[58:59] offset0:40 offset1:196
	ds_write2_b64 v79, v[48:49], v[50:51] offset0:96 offset1:252
	ds_write_b64 v83, v[36:37] offset:12480
	s_waitcnt lgkmcnt(0)
	s_barrier
	s_and_saveexec_b64 s[14:15], s[0:1]
	s_cbranch_execz .LBB0_17
; %bb.16:
	v_add_co_u32_e32 v104, vcc, s12, v83
	v_mov_b32_e32 v81, s13
	v_addc_co_u32_e32 v105, vcc, 0, v81, vcc
	v_add_co_u32_e32 v100, vcc, 0x35a0, v104
	v_addc_co_u32_e32 v101, vcc, 0, v105, vcc
	v_add_co_u32_e32 v96, vcc, 0x3000, v104
	v_addc_co_u32_e32 v97, vcc, 0, v105, vcc
	global_load_dwordx2 v[96:97], v[96:97], off offset:1440
	ds_read_b64 v[81:82], v83
	v_add_u32_e32 v106, 0x400, v83
	s_movk_i32 s16, 0x4000
	s_waitcnt vmcnt(0) lgkmcnt(0)
	v_mul_f32_e32 v98, v82, v97
	v_mul_f32_e32 v99, v81, v97
	v_fma_f32 v98, v81, v96, -v98
	v_fmac_f32_e32 v99, v82, v96
	global_load_dwordx2 v[81:82], v[100:101], off offset:1056
	ds_write_b64 v83, v[98:99]
	ds_read2_b64 v[96:99], v106 offset0:4 offset1:136
	s_waitcnt vmcnt(0) lgkmcnt(0)
	v_mul_f32_e32 v102, v97, v82
	v_mul_f32_e32 v103, v96, v82
	v_fma_f32 v102, v96, v81, -v102
	v_fmac_f32_e32 v103, v97, v81
	global_load_dwordx2 v[81:82], v[100:101], off offset:2112
	s_waitcnt vmcnt(0)
	v_mul_f32_e32 v96, v99, v82
	v_mul_f32_e32 v97, v98, v82
	v_fma_f32 v96, v98, v81, -v96
	v_fmac_f32_e32 v97, v99, v81
	global_load_dwordx2 v[81:82], v[100:101], off offset:3168
	ds_write2_b64 v106, v[102:103], v[96:97] offset0:4 offset1:136
	v_add_u32_e32 v106, 0xc00, v83
	ds_read2_b64 v[96:99], v106 offset0:12 offset1:144
	s_waitcnt vmcnt(0) lgkmcnt(0)
	v_mul_f32_e32 v100, v97, v82
	v_mul_f32_e32 v101, v96, v82
	v_fma_f32 v100, v96, v81, -v100
	v_fmac_f32_e32 v101, v97, v81
	v_add_co_u32_e32 v81, vcc, s16, v104
	v_addc_co_u32_e32 v82, vcc, 0, v105, vcc
	global_load_dwordx2 v[96:97], v[81:82], off offset:1568
	s_movk_i32 s16, 0x5000
	s_waitcnt vmcnt(0)
	v_mul_f32_e32 v102, v99, v97
	v_mul_f32_e32 v103, v98, v97
	v_fma_f32 v102, v98, v96, -v102
	v_fmac_f32_e32 v103, v99, v96
	ds_write2_b64 v106, v[100:101], v[102:103] offset0:12 offset1:144
	global_load_dwordx2 v[100:101], v[81:82], off offset:2624
	v_add_u32_e32 v106, 0x1400, v83
	global_load_dwordx2 v[81:82], v[81:82], off offset:3680
	ds_read2_b64 v[96:99], v106 offset0:20 offset1:152
	s_waitcnt vmcnt(1) lgkmcnt(0)
	v_mul_f32_e32 v102, v97, v101
	v_mul_f32_e32 v103, v96, v101
	v_fma_f32 v102, v96, v100, -v102
	v_fmac_f32_e32 v103, v97, v100
	s_waitcnt vmcnt(0)
	v_mul_f32_e32 v96, v99, v82
	v_mul_f32_e32 v97, v98, v82
	v_fma_f32 v96, v98, v81, -v96
	v_fmac_f32_e32 v97, v99, v81
	v_add_co_u32_e32 v81, vcc, s16, v104
	v_addc_co_u32_e32 v82, vcc, 0, v105, vcc
	global_load_dwordx2 v[100:101], v[81:82], off offset:640
	ds_write2_b64 v106, v[102:103], v[96:97] offset0:20 offset1:152
	ds_read2_b64 v[96:99], v80 offset0:28 offset1:160
	s_movk_i32 s16, 0x6000
	s_waitcnt vmcnt(0) lgkmcnt(0)
	v_mul_f32_e32 v102, v97, v101
	v_mul_f32_e32 v103, v96, v101
	v_fma_f32 v102, v96, v100, -v102
	v_fmac_f32_e32 v103, v97, v100
	global_load_dwordx2 v[96:97], v[81:82], off offset:1696
	s_waitcnt vmcnt(0)
	v_mul_f32_e32 v100, v99, v97
	v_mul_f32_e32 v101, v98, v97
	v_fma_f32 v100, v98, v96, -v100
	v_fmac_f32_e32 v101, v99, v96
	ds_write2_b64 v80, v[102:103], v[100:101] offset0:28 offset1:160
	global_load_dwordx2 v[100:101], v[81:82], off offset:2752
	ds_read2_b64 v[96:99], v79 offset0:36 offset1:168
	s_waitcnt vmcnt(0) lgkmcnt(0)
	v_mul_f32_e32 v80, v97, v101
	v_fma_f32 v102, v96, v100, -v80
	global_load_dwordx2 v[80:81], v[81:82], off offset:3808
	v_mul_f32_e32 v103, v96, v101
	v_fmac_f32_e32 v103, v97, v100
	s_waitcnt vmcnt(0)
	v_mul_f32_e32 v82, v99, v81
	v_mul_f32_e32 v97, v98, v81
	v_fma_f32 v96, v98, v80, -v82
	v_fmac_f32_e32 v97, v99, v80
	ds_write2_b64 v79, v[102:103], v[96:97] offset0:36 offset1:168
	v_add_co_u32_e32 v96, vcc, s16, v104
	v_addc_co_u32_e32 v97, vcc, 0, v105, vcc
	global_load_dwordx2 v[98:99], v[96:97], off offset:768
	v_add_u32_e32 v102, 0x2c00, v83
	ds_read2_b64 v[79:82], v102 offset0:44 offset1:176
	s_waitcnt vmcnt(0) lgkmcnt(0)
	v_mul_f32_e32 v100, v80, v99
	v_mul_f32_e32 v101, v79, v99
	v_fma_f32 v100, v79, v98, -v100
	v_fmac_f32_e32 v101, v80, v98
	global_load_dwordx2 v[79:80], v[96:97], off offset:1824
	s_waitcnt vmcnt(0)
	v_mul_f32_e32 v96, v82, v80
	v_mul_f32_e32 v97, v81, v80
	v_fma_f32 v96, v81, v79, -v96
	v_fmac_f32_e32 v97, v82, v79
	ds_write2_b64 v102, v[100:101], v[96:97] offset0:44 offset1:176
.LBB0_17:
	s_or_b64 exec, exec, s[14:15]
	s_waitcnt lgkmcnt(0)
	s_barrier
	s_and_saveexec_b64 s[14:15], s[0:1]
	s_cbranch_execz .LBB0_19
; %bb.18:
	v_add_u32_e32 v36, 0x800, v83
	ds_read2_b64 v[44:47], v36 offset0:8 offset1:140
	v_add_u32_e32 v36, 0x1000, v83
	ds_read2_b64 v[52:55], v36 offset0:16 offset1:148
	;; [unrolled: 2-line block ×4, first 2 shown]
	v_add_u32_e32 v36, 0x2800, v83
	ds_read2_b64 v[40:43], v83 offset1:132
	ds_read2_b64 v[36:39], v36 offset0:40 offset1:172
	ds_read_b64 v[61:62], v83 offset:12672
.LBB0_19:
	s_or_b64 exec, exec, s[14:15]
	s_waitcnt lgkmcnt(0)
	v_sub_f32_e32 v108, v43, v62
	v_add_f32_e32 v96, v61, v42
	v_add_f32_e32 v110, v62, v43
	s_mov_b32 s16, 0x3f116cb1
	v_mul_f32_e32 v112, 0xbf52af12, v108
	v_sub_f32_e32 v109, v45, v39
	v_mul_f32_e32 v115, 0x3f116cb1, v110
	v_fma_f32 v79, v96, s16, -v112
	v_add_f32_e32 v97, v38, v44
	v_add_f32_e32 v113, v39, v45
	s_mov_b32 s18, 0xbeb58ec6
	v_mul_f32_e32 v117, 0xbf6f5d39, v109
	v_sub_f32_e32 v98, v42, v61
	v_add_f32_e32 v79, v40, v79
	v_mov_b32_e32 v80, v115
	v_mul_f32_e32 v120, 0xbeb58ec6, v113
	v_fma_f32 v100, v97, s18, -v117
	v_fmac_f32_e32 v80, 0xbf52af12, v98
	s_mov_b32 s17, 0x3df6dbef
	v_mul_f32_e32 v121, 0xbf7e222b, v108
	v_sub_f32_e32 v99, v44, v38
	v_add_f32_e32 v79, v100, v79
	v_mov_b32_e32 v100, v120
	v_add_f32_e32 v80, v41, v80
	v_mul_f32_e32 v124, 0x3df6dbef, v110
	v_fma_f32 v81, v96, s17, -v121
	v_fmac_f32_e32 v100, 0xbf6f5d39, v99
	s_mov_b32 s19, 0xbf788fa5
	v_mul_f32_e32 v127, 0xbe750f2a, v109
	v_add_f32_e32 v81, v40, v81
	v_mov_b32_e32 v82, v124
	v_add_f32_e32 v80, v100, v80
	v_mul_f32_e32 v130, 0xbf788fa5, v113
	v_fma_f32 v100, v97, s19, -v127
	v_fmac_f32_e32 v82, 0xbf7e222b, v98
	v_add_f32_e32 v81, v100, v81
	v_mov_b32_e32 v100, v130
	v_add_f32_e32 v82, v41, v82
	v_fmac_f32_e32 v100, 0xbe750f2a, v99
	v_sub_f32_e32 v111, v47, v37
	v_add_f32_e32 v82, v100, v82
	v_add_f32_e32 v100, v36, v46
	;; [unrolled: 1-line block ×3, first 2 shown]
	v_mul_f32_e32 v122, 0xbe750f2a, v111
	v_mul_f32_e32 v126, 0xbf788fa5, v116
	v_fma_f32 v101, v100, s19, -v122
	v_sub_f32_e32 v102, v46, v36
	v_add_f32_e32 v79, v101, v79
	v_mov_b32_e32 v101, v126
	v_fmac_f32_e32 v101, 0xbe750f2a, v102
	v_mul_f32_e32 v132, 0x3f6f5d39, v111
	v_add_f32_e32 v80, v101, v80
	v_mul_f32_e32 v134, 0xbeb58ec6, v116
	v_fma_f32 v101, v100, s18, -v132
	v_add_f32_e32 v81, v101, v81
	v_mov_b32_e32 v101, v134
	v_fmac_f32_e32 v101, 0x3f6f5d39, v102
	v_sub_f32_e32 v114, v53, v51
	v_add_f32_e32 v82, v101, v82
	v_add_f32_e32 v101, v50, v52
	;; [unrolled: 1-line block ×3, first 2 shown]
	s_mov_b32 s20, 0xbf3f9e67
	v_mul_f32_e32 v128, 0x3f29c268, v114
	v_mul_f32_e32 v131, 0xbf3f9e67, v119
	v_fma_f32 v104, v101, s20, -v128
	v_sub_f32_e32 v103, v52, v50
	v_add_f32_e32 v79, v104, v79
	v_mov_b32_e32 v104, v131
	v_fmac_f32_e32 v104, 0x3f29c268, v103
	s_mov_b32 s21, 0x3f62ad3f
	v_mul_f32_e32 v136, 0x3eedf032, v114
	v_add_f32_e32 v80, v104, v80
	v_mul_f32_e32 v138, 0x3f62ad3f, v119
	v_fma_f32 v104, v101, s21, -v136
	v_add_f32_e32 v81, v104, v81
	v_mov_b32_e32 v104, v138
	v_fmac_f32_e32 v104, 0x3eedf032, v103
	v_sub_f32_e32 v118, v55, v49
	v_add_f32_e32 v82, v104, v82
	v_add_f32_e32 v104, v48, v54
	;; [unrolled: 1-line block ×3, first 2 shown]
	v_mul_f32_e32 v133, 0x3f7e222b, v118
	v_mul_f32_e32 v135, 0x3df6dbef, v125
	v_fma_f32 v106, v104, s17, -v133
	v_sub_f32_e32 v105, v54, v48
	v_add_f32_e32 v79, v106, v79
	v_mov_b32_e32 v106, v135
	v_fmac_f32_e32 v106, 0x3f7e222b, v105
	v_mul_f32_e32 v140, 0xbf52af12, v118
	v_add_f32_e32 v80, v106, v80
	v_mul_f32_e32 v141, 0x3f116cb1, v125
	v_fma_f32 v106, v104, s16, -v140
	v_add_f32_e32 v144, v106, v81
	v_mov_b32_e32 v81, v141
	v_sub_f32_e32 v123, v57, v59
	v_fmac_f32_e32 v81, 0xbf52af12, v105
	v_add_f32_e32 v106, v58, v56
	v_add_f32_e32 v129, v59, v57
	v_mul_f32_e32 v137, 0x3eedf032, v123
	v_add_f32_e32 v145, v81, v82
	v_mul_f32_e32 v139, 0x3f62ad3f, v129
	v_fma_f32 v81, v106, s21, -v137
	v_sub_f32_e32 v107, v56, v58
	v_add_f32_e32 v81, v81, v79
	v_mov_b32_e32 v79, v139
	v_fmac_f32_e32 v79, 0x3eedf032, v107
	v_mul_f32_e32 v143, 0xbf3f9e67, v129
	v_add_f32_e32 v82, v79, v80
	v_mul_f32_e32 v142, 0xbf29c268, v123
	v_mov_b32_e32 v80, v143
	v_fma_f32 v79, v106, s20, -v142
	v_fmac_f32_e32 v80, 0xbf29c268, v107
	v_add_f32_e32 v79, v79, v144
	v_add_f32_e32 v80, v80, v145
	s_barrier
	s_and_saveexec_b64 s[14:15], s[0:1]
	s_cbranch_execz .LBB0_21
; %bb.20:
	v_mul_f32_e32 v148, 0xbf29c268, v98
	v_mov_b32_e32 v144, v148
	v_mul_f32_e32 v149, 0x3f7e222b, v99
	v_fmac_f32_e32 v144, 0xbf3f9e67, v110
	v_mov_b32_e32 v145, v149
	v_add_f32_e32 v144, v41, v144
	v_fmac_f32_e32 v145, 0x3df6dbef, v113
	v_mul_f32_e32 v150, 0xbf52af12, v102
	v_add_f32_e32 v144, v145, v144
	v_mov_b32_e32 v145, v150
	v_fmac_f32_e32 v145, 0x3f116cb1, v116
	v_mul_f32_e32 v151, 0x3e750f2a, v103
	v_add_f32_e32 v144, v145, v144
	v_mov_b32_e32 v145, v151
	;; [unrolled: 4-line block ×4, first 2 shown]
	v_fmac_f32_e32 v145, 0xbeb58ec6, v129
	v_mul_f32_e32 v178, 0xbf29c268, v108
	v_add_f32_e32 v145, v145, v144
	v_fma_f32 v144, v96, s20, -v178
	v_mul_f32_e32 v179, 0x3f7e222b, v109
	v_add_f32_e32 v144, v40, v144
	v_fma_f32 v146, v97, s17, -v179
	;; [unrolled: 3-line block ×4, first 2 shown]
	v_mul_f32_e32 v182, 0x3eedf032, v118
	v_add_f32_e32 v43, v43, v41
	v_add_f32_e32 v144, v146, v144
	v_fma_f32 v146, v104, s21, -v182
	v_mul_f32_e32 v183, 0xbf6f5d39, v123
	v_add_f32_e32 v43, v45, v43
	v_add_f32_e32 v144, v146, v144
	v_fma_f32 v146, v106, s18, -v183
	v_mul_f32_e32 v184, 0xbf788fa5, v110
	v_add_f32_e32 v43, v47, v43
	v_mul_f32_e32 v155, 0xbf7e222b, v98
	v_add_f32_e32 v144, v146, v144
	v_mov_b32_e32 v146, v184
	v_mul_f32_e32 v185, 0x3f62ad3f, v113
	v_add_f32_e32 v43, v53, v43
	v_mul_f32_e32 v159, 0xbe750f2a, v99
	v_fmac_f32_e32 v146, 0x3e750f2a, v98
	v_mov_b32_e32 v147, v185
	v_sub_f32_e32 v124, v124, v155
	v_add_f32_e32 v43, v55, v43
	v_mul_f32_e32 v163, 0x3f6f5d39, v102
	v_add_f32_e32 v146, v41, v146
	v_fmac_f32_e32 v147, 0xbeedf032, v99
	v_mul_f32_e32 v186, 0xbf3f9e67, v116
	v_add_f32_e32 v124, v41, v124
	v_sub_f32_e32 v130, v130, v159
	v_add_f32_e32 v43, v57, v43
	v_mul_f32_e32 v167, 0x3eedf032, v103
	v_add_f32_e32 v146, v147, v146
	v_mov_b32_e32 v147, v186
	v_add_f32_e32 v124, v130, v124
	v_sub_f32_e32 v130, v134, v163
	v_add_f32_e32 v43, v59, v43
	v_mul_f32_e32 v171, 0xbf52af12, v105
	v_fmac_f32_e32 v147, 0x3f29c268, v102
	v_mul_f32_e32 v187, 0x3f116cb1, v119
	v_add_f32_e32 v124, v130, v124
	v_sub_f32_e32 v130, v138, v167
	v_add_f32_e32 v43, v49, v43
	v_mul_f32_e32 v153, 0xbf52af12, v98
	v_mul_f32_e32 v154, 0x3df6dbef, v96
	;; [unrolled: 1-line block ×3, first 2 shown]
	v_add_f32_e32 v146, v147, v146
	v_mov_b32_e32 v147, v187
	v_add_f32_e32 v124, v130, v124
	v_sub_f32_e32 v130, v141, v171
	v_add_f32_e32 v43, v51, v43
	v_mul_f32_e32 v157, 0xbf6f5d39, v99
	v_mul_f32_e32 v158, 0xbf788fa5, v97
	v_fmac_f32_e32 v147, 0xbf52af12, v103
	v_mul_f32_e32 v188, 0xbeb58ec6, v125
	v_add_f32_e32 v124, v130, v124
	v_sub_f32_e32 v130, v143, v175
	v_add_f32_e32 v121, v154, v121
	v_sub_f32_e32 v115, v115, v153
	v_add_f32_e32 v37, v37, v43
	v_mul_f32_e32 v161, 0xbe750f2a, v102
	v_mul_f32_e32 v162, 0xbeb58ec6, v100
	v_add_f32_e32 v146, v147, v146
	v_mov_b32_e32 v147, v188
	v_add_f32_e32 v141, v130, v124
	v_add_f32_e32 v121, v40, v121
	;; [unrolled: 1-line block ×4, first 2 shown]
	v_sub_f32_e32 v120, v120, v157
	v_add_f32_e32 v37, v39, v37
	v_add_f32_e32 v39, v42, v40
	v_mul_f32_e32 v165, 0x3f29c268, v103
	v_mul_f32_e32 v166, 0x3f62ad3f, v101
	v_fmac_f32_e32 v147, 0x3f6f5d39, v105
	v_mul_f32_e32 v189, 0x3df6dbef, v129
	v_add_f32_e32 v121, v124, v121
	v_add_f32_e32 v124, v162, v132
	v_add_f32_e32 v115, v120, v115
	v_sub_f32_e32 v120, v126, v161
	v_add_f32_e32 v39, v44, v39
	v_mul_f32_e32 v169, 0x3f7e222b, v105
	v_mul_f32_e32 v170, 0x3f116cb1, v104
	v_add_f32_e32 v146, v147, v146
	v_mov_b32_e32 v147, v189
	v_fma_f32 v148, v110, s20, -v148
	v_add_f32_e32 v121, v124, v121
	v_add_f32_e32 v124, v166, v136
	;; [unrolled: 1-line block ×3, first 2 shown]
	v_sub_f32_e32 v120, v131, v165
	v_add_f32_e32 v39, v46, v39
	v_mul_f32_e32 v152, 0x3f116cb1, v96
	v_mul_f32_e32 v173, 0x3eedf032, v107
	;; [unrolled: 1-line block ×3, first 2 shown]
	v_fmac_f32_e32 v147, 0xbf7e222b, v107
	v_mul_f32_e32 v190, 0xbe750f2a, v108
	v_add_f32_e32 v148, v41, v148
	v_fma_f32 v149, v113, s17, -v149
	v_add_f32_e32 v121, v124, v121
	v_add_f32_e32 v124, v170, v140
	;; [unrolled: 1-line block ×3, first 2 shown]
	v_sub_f32_e32 v120, v135, v169
	v_add_f32_e32 v39, v52, v39
	v_mul_f32_e32 v156, 0xbeb58ec6, v97
	v_add_f32_e32 v147, v147, v146
	v_mov_b32_e32 v146, v190
	v_mul_f32_e32 v191, 0x3eedf032, v109
	v_add_f32_e32 v148, v149, v148
	v_fma_f32 v149, v116, s16, -v150
	v_add_f32_e32 v121, v124, v121
	v_add_f32_e32 v124, v174, v142
	;; [unrolled: 1-line block ×3, first 2 shown]
	v_sub_f32_e32 v120, v139, v173
	v_add_f32_e32 v112, v152, v112
	v_add_f32_e32 v39, v54, v39
	v_mul_f32_e32 v160, 0xbf788fa5, v100
	v_fmac_f32_e32 v146, 0xbf788fa5, v96
	v_mov_b32_e32 v192, v191
	v_add_f32_e32 v148, v149, v148
	v_fma_f32 v149, v119, s19, -v151
	v_add_f32_e32 v140, v124, v121
	v_add_f32_e32 v121, v120, v115
	;; [unrolled: 1-line block ×5, first 2 shown]
	v_mul_f32_e32 v164, 0xbf3f9e67, v101
	v_add_f32_e32 v146, v40, v146
	v_fmac_f32_e32 v192, 0x3f62ad3f, v97
	v_add_f32_e32 v148, v149, v148
	v_fma_f32 v149, v125, s21, -v176
	v_mul_f32_e32 v176, 0xbeb58ec6, v110
	v_add_f32_e32 v112, v115, v112
	v_add_f32_e32 v115, v160, v122
	;; [unrolled: 1-line block ×3, first 2 shown]
	v_mul_f32_e32 v168, 0x3df6dbef, v104
	v_add_f32_e32 v146, v192, v146
	v_mul_f32_e32 v192, 0xbf29c268, v111
	v_add_f32_e32 v148, v149, v148
	v_fma_f32 v149, v129, s18, -v177
	v_mov_b32_e32 v150, v176
	v_mul_f32_e32 v177, 0xbf3f9e67, v113
	v_add_f32_e32 v112, v115, v112
	v_add_f32_e32 v115, v164, v128
	v_add_f32_e32 v39, v48, v39
	v_mul_f32_e32 v172, 0x3f62ad3f, v106
	v_mov_b32_e32 v193, v192
	v_fmac_f32_e32 v178, 0xbf3f9e67, v96
	v_fmac_f32_e32 v150, 0x3f6f5d39, v98
	v_mov_b32_e32 v151, v177
	v_add_f32_e32 v112, v115, v112
	v_add_f32_e32 v115, v168, v133
	;; [unrolled: 1-line block ×3, first 2 shown]
	v_fmac_f32_e32 v193, 0xbf3f9e67, v100
	v_add_f32_e32 v149, v149, v148
	v_add_f32_e32 v148, v40, v178
	v_add_f32_e32 v150, v41, v150
	v_fmac_f32_e32 v151, 0xbf29c268, v99
	v_mul_f32_e32 v178, 0x3f62ad3f, v116
	v_add_f32_e32 v112, v115, v112
	v_add_f32_e32 v115, v172, v137
	;; [unrolled: 1-line block ×3, first 2 shown]
	v_fmac_f32_e32 v184, 0xbe750f2a, v98
	v_add_f32_e32 v146, v193, v146
	v_mul_f32_e32 v193, 0x3f52af12, v114
	v_fmac_f32_e32 v179, 0x3df6dbef, v97
	v_add_f32_e32 v150, v151, v150
	v_mov_b32_e32 v151, v178
	v_add_f32_e32 v120, v115, v112
	v_mul_f32_e32 v112, 0x3f62ad3f, v110
	v_add_f32_e32 v36, v38, v36
	v_add_f32_e32 v38, v41, v184
	v_fmac_f32_e32 v185, 0x3eedf032, v99
	v_mov_b32_e32 v194, v193
	v_add_f32_e32 v148, v179, v148
	v_fmac_f32_e32 v151, 0xbeedf032, v102
	v_mul_f32_e32 v179, 0x3df6dbef, v119
	v_mov_b32_e32 v110, v112
	v_mul_f32_e32 v113, 0x3f116cb1, v113
	v_add_f32_e32 v38, v185, v38
	v_fmac_f32_e32 v186, 0xbf29c268, v102
	v_fmac_f32_e32 v194, 0x3f116cb1, v101
	;; [unrolled: 1-line block ×3, first 2 shown]
	v_add_f32_e32 v150, v151, v150
	v_mov_b32_e32 v151, v179
	v_fmac_f32_e32 v110, 0x3eedf032, v98
	v_mov_b32_e32 v115, v113
	v_add_f32_e32 v38, v186, v38
	v_fmac_f32_e32 v187, 0x3f52af12, v103
	v_add_f32_e32 v146, v194, v146
	v_mul_f32_e32 v194, 0xbf6f5d39, v118
	v_add_f32_e32 v148, v180, v148
	v_fmac_f32_e32 v151, 0x3f7e222b, v103
	v_mul_f32_e32 v180, 0xbf788fa5, v125
	v_add_f32_e32 v110, v41, v110
	v_fmac_f32_e32 v115, 0x3f52af12, v99
	v_add_f32_e32 v38, v187, v38
	v_fmac_f32_e32 v188, 0xbf6f5d39, v105
	v_mov_b32_e32 v195, v194
	v_fmac_f32_e32 v181, 0xbf788fa5, v101
	v_add_f32_e32 v150, v151, v150
	v_mov_b32_e32 v151, v180
	v_add_f32_e32 v110, v115, v110
	v_mul_f32_e32 v115, 0x3df6dbef, v116
	v_add_f32_e32 v38, v188, v38
	v_fmac_f32_e32 v189, 0x3f7e222b, v107
	v_fmac_f32_e32 v195, 0xbeb58ec6, v104
	v_add_f32_e32 v148, v181, v148
	v_fmac_f32_e32 v151, 0xbe750f2a, v105
	v_mul_f32_e32 v181, 0x3f116cb1, v129
	v_mov_b32_e32 v116, v115
	v_add_f32_e32 v39, v189, v38
	v_fma_f32 v38, v96, s19, -v190
	v_add_f32_e32 v146, v195, v146
	v_mul_f32_e32 v195, 0x3f7e222b, v123
	v_fmac_f32_e32 v182, 0x3f62ad3f, v104
	v_add_f32_e32 v150, v151, v150
	v_mov_b32_e32 v151, v181
	v_fmac_f32_e32 v116, 0x3f7e222b, v102
	v_add_f32_e32 v38, v40, v38
	v_fma_f32 v42, v97, s21, -v191
	v_mov_b32_e32 v196, v195
	v_add_f32_e32 v148, v182, v148
	v_fmac_f32_e32 v183, 0xbeb58ec6, v106
	v_fmac_f32_e32 v151, 0xbf52af12, v107
	v_mul_f32_e32 v182, 0xbf6f5d39, v108
	v_add_f32_e32 v110, v116, v110
	v_mul_f32_e32 v116, 0xbeb58ec6, v119
	v_add_f32_e32 v38, v42, v38
	v_fma_f32 v42, v100, s20, -v192
	v_fmac_f32_e32 v196, 0x3df6dbef, v106
	v_add_f32_e32 v148, v183, v148
	v_add_f32_e32 v151, v151, v150
	v_mov_b32_e32 v150, v182
	v_mul_f32_e32 v183, 0x3f29c268, v109
	v_mov_b32_e32 v117, v116
	v_add_f32_e32 v38, v42, v38
	v_fma_f32 v42, v101, s16, -v193
	v_add_f32_e32 v146, v196, v146
	v_fmac_f32_e32 v150, 0xbeb58ec6, v96
	v_mov_b32_e32 v196, v183
	v_fmac_f32_e32 v117, 0x3f6f5d39, v103
	v_add_f32_e32 v38, v42, v38
	v_fma_f32 v42, v104, s18, -v194
	v_add_f32_e32 v150, v40, v150
	v_fmac_f32_e32 v196, 0xbf3f9e67, v97
	v_add_f32_e32 v110, v117, v110
	v_mul_f32_e32 v117, 0xbf3f9e67, v125
	v_add_f32_e32 v38, v42, v38
	v_fma_f32 v42, v106, s17, -v195
	v_fmac_f32_e32 v176, 0xbf6f5d39, v98
	v_add_f32_e32 v150, v196, v150
	v_mul_f32_e32 v196, 0x3eedf032, v111
	v_mov_b32_e32 v119, v117
	v_add_f32_e32 v38, v42, v38
	v_add_f32_e32 v42, v41, v176
	v_fmac_f32_e32 v177, 0x3f29c268, v99
	v_mov_b32_e32 v197, v196
	v_fmac_f32_e32 v119, 0x3f29c268, v105
	v_add_f32_e32 v42, v177, v42
	v_fmac_f32_e32 v178, 0x3eedf032, v102
	v_fmac_f32_e32 v197, 0x3f62ad3f, v100
	v_add_f32_e32 v110, v119, v110
	v_mul_f32_e32 v119, 0xbf788fa5, v129
	v_add_f32_e32 v42, v178, v42
	v_fmac_f32_e32 v179, 0xbf7e222b, v103
	v_add_f32_e32 v150, v197, v150
	v_mul_f32_e32 v197, 0xbf7e222b, v114
	v_mov_b32_e32 v122, v119
	v_add_f32_e32 v42, v179, v42
	v_fmac_f32_e32 v180, 0x3e750f2a, v105
	v_mov_b32_e32 v198, v197
	v_fmac_f32_e32 v122, 0x3e750f2a, v107
	v_mul_f32_e32 v108, 0xbeedf032, v108
	v_add_f32_e32 v42, v180, v42
	v_fmac_f32_e32 v181, 0x3f52af12, v107
	v_fmac_f32_e32 v198, 0x3df6dbef, v101
	v_add_f32_e32 v110, v122, v110
	v_mov_b32_e32 v122, v108
	v_mul_f32_e32 v124, 0xbf52af12, v109
	v_add_f32_e32 v43, v181, v42
	v_fma_f32 v42, v96, s18, -v182
	v_add_f32_e32 v150, v198, v150
	v_mul_f32_e32 v198, 0x3e750f2a, v118
	v_fmac_f32_e32 v122, 0x3f62ad3f, v96
	v_mov_b32_e32 v109, v124
	v_add_f32_e32 v42, v40, v42
	v_fma_f32 v44, v97, s20, -v183
	v_mov_b32_e32 v199, v198
	v_add_f32_e32 v122, v40, v122
	v_fmac_f32_e32 v109, 0x3f116cb1, v97
	v_mul_f32_e32 v111, 0xbf7e222b, v111
	v_add_f32_e32 v42, v44, v42
	v_fma_f32 v44, v100, s21, -v196
	v_fmac_f32_e32 v199, 0xbf788fa5, v104
	v_add_f32_e32 v109, v109, v122
	v_mov_b32_e32 v122, v111
	v_add_f32_e32 v42, v44, v42
	v_fma_f32 v44, v101, s17, -v197
	v_add_f32_e32 v150, v199, v150
	v_mul_f32_e32 v199, 0x3f52af12, v123
	v_fmac_f32_e32 v122, 0x3df6dbef, v100
	v_mul_f32_e32 v114, 0xbf6f5d39, v114
	v_add_f32_e32 v42, v44, v42
	v_fma_f32 v44, v104, s19, -v198
	v_add_f32_e32 v109, v122, v109
	v_mov_b32_e32 v122, v114
	v_add_f32_e32 v42, v44, v42
	v_fma_f32 v44, v106, s16, -v199
	v_fmac_f32_e32 v122, 0xbeb58ec6, v101
	v_mul_f32_e32 v118, 0xbf29c268, v118
	v_add_f32_e32 v42, v44, v42
	v_fma_f32 v44, v96, s21, -v108
	v_add_f32_e32 v109, v122, v109
	v_mov_b32_e32 v122, v118
	v_fmac_f32_e32 v112, 0xbeedf032, v98
	v_add_f32_e32 v40, v40, v44
	v_fma_f32 v44, v97, s16, -v124
	v_fmac_f32_e32 v122, 0xbf3f9e67, v104
	v_add_f32_e32 v41, v41, v112
	v_fmac_f32_e32 v113, 0xbf52af12, v99
	v_add_f32_e32 v40, v44, v40
	v_fma_f32 v44, v100, s17, -v111
	v_add_f32_e32 v109, v122, v109
	v_mul_f32_e32 v122, 0xbe750f2a, v123
	v_add_f32_e32 v41, v113, v41
	v_fmac_f32_e32 v115, 0xbf7e222b, v102
	v_add_f32_e32 v40, v44, v40
	v_fma_f32 v44, v101, s18, -v114
	v_mov_b32_e32 v123, v122
	v_add_f32_e32 v41, v115, v41
	v_fmac_f32_e32 v116, 0xbf6f5d39, v103
	v_add_f32_e32 v40, v44, v40
	v_fma_f32 v44, v104, s20, -v118
	v_mov_b32_e32 v200, v199
	v_fmac_f32_e32 v123, 0xbf788fa5, v106
	v_add_f32_e32 v41, v116, v41
	v_fmac_f32_e32 v117, 0xbf29c268, v105
	v_add_f32_e32 v40, v44, v40
	v_fma_f32 v44, v106, s19, -v122
	v_fmac_f32_e32 v200, 0x3f116cb1, v106
	v_add_f32_e32 v109, v123, v109
	v_add_f32_e32 v37, v62, v37
	;; [unrolled: 1-line block ×4, first 2 shown]
	v_fmac_f32_e32 v119, 0xbe750f2a, v107
	v_add_f32_e32 v40, v44, v40
	v_lshlrev_b32_e32 v44, 3, v85
	v_add_f32_e32 v150, v200, v150
	v_add_f32_e32 v41, v119, v41
	ds_write2_b64 v44, v[36:37], v[109:110] offset1:1
	ds_write2_b64 v44, v[120:121], v[140:141] offset0:2 offset1:3
	ds_write2_b64 v44, v[150:151], v[148:149] offset0:4 offset1:5
	ds_write2_b64 v44, v[146:147], v[38:39] offset0:6 offset1:7
	ds_write2_b64 v44, v[144:145], v[42:43] offset0:8 offset1:9
	ds_write2_b64 v44, v[79:80], v[81:82] offset0:10 offset1:11
	ds_write_b64 v44, v[40:41] offset:96
.LBB0_21:
	s_or_b64 exec, exec, s[14:15]
	v_add_u32_e32 v44, 0x1e00, v83
	s_waitcnt lgkmcnt(0)
	s_barrier
	v_add_u32_e32 v36, 0x1300, v83
	ds_read2_b64 v[52:55], v44 offset0:54 offset1:210
	v_add_u32_e32 v44, 0x800, v83
	v_add_u32_e32 v48, 0x2800, v83
	ds_read2_b64 v[40:43], v83 offset1:156
	ds_read2_b64 v[36:39], v36 offset0:16 offset1:250
	ds_read2_b64 v[44:47], v44 offset0:56 offset1:212
	;; [unrolled: 1-line block ×3, first 2 shown]
	s_and_saveexec_b64 s[14:15], s[2:3]
	s_cbranch_execz .LBB0_23
; %bb.22:
	ds_read_b64 v[79:80], v83 offset:6240
	ds_read_b64 v[81:82], v83 offset:13104
.LBB0_23:
	s_or_b64 exec, exec, s[14:15]
	s_waitcnt lgkmcnt(2)
	v_mul_f32_e32 v56, v72, v39
	v_fmac_f32_e32 v56, v71, v38
	v_mul_f32_e32 v38, v72, v38
	v_fma_f32 v38, v71, v39, -v38
	v_mul_f32_e32 v39, v70, v53
	s_waitcnt lgkmcnt(0)
	v_mul_f32_e32 v61, v66, v49
	v_fmac_f32_e32 v39, v69, v52
	v_mul_f32_e32 v52, v70, v52
	v_fmac_f32_e32 v61, v65, v48
	v_mul_f32_e32 v48, v66, v48
	v_fma_f32 v53, v69, v53, -v52
	v_mul_f32_e32 v57, v68, v55
	v_mul_f32_e32 v52, v68, v54
	v_fma_f32 v62, v65, v49, -v48
	v_mul_f32_e32 v65, v76, v51
	v_mul_f32_e32 v48, v76, v50
	v_fmac_f32_e32 v57, v67, v54
	v_fma_f32 v58, v67, v55, -v52
	v_fmac_f32_e32 v65, v75, v50
	v_fma_f32 v66, v75, v51, -v48
	v_mul_f32_e32 v67, v74, v82
	v_mul_f32_e32 v48, v74, v81
	v_sub_f32_e32 v52, v42, v39
	v_sub_f32_e32 v53, v43, v53
	v_fmac_f32_e32 v67, v73, v81
	v_fma_f32 v68, v73, v82, -v48
	v_sub_f32_e32 v48, v40, v56
	v_sub_f32_e32 v49, v41, v38
	v_fma_f32 v54, v42, 2.0, -v52
	v_fma_f32 v55, v43, 2.0, -v53
	v_sub_f32_e32 v56, v44, v57
	v_sub_f32_e32 v57, v45, v58
	;; [unrolled: 1-line block ×4, first 2 shown]
	v_fma_f32 v50, v40, 2.0, -v48
	v_fma_f32 v51, v41, 2.0, -v49
	;; [unrolled: 1-line block ×4, first 2 shown]
	v_sub_f32_e32 v40, v46, v61
	v_sub_f32_e32 v41, v47, v62
	v_fma_f32 v44, v36, 2.0, -v42
	v_fma_f32 v45, v37, 2.0, -v43
	v_sub_f32_e32 v36, v79, v67
	v_sub_f32_e32 v37, v80, v68
	v_fma_f32 v38, v46, 2.0, -v40
	v_fma_f32 v39, v47, 2.0, -v41
	v_fma_f32 v46, v79, 2.0, -v36
	v_fma_f32 v47, v80, 2.0, -v37
	s_barrier
	ds_write2_b64 v90, v[50:51], v[48:49] offset1:13
	ds_write2_b64 v91, v[54:55], v[52:53] offset1:13
	;; [unrolled: 1-line block ×5, first 2 shown]
	s_and_saveexec_b64 s[14:15], s[2:3]
	s_cbranch_execz .LBB0_25
; %bb.24:
	v_mad_legacy_u16 v48, v88, 26, v89
	v_lshlrev_b32_e32 v48, 3, v48
	ds_write2_b64 v48, v[46:47], v[36:37] offset1:13
.LBB0_25:
	s_or_b64 exec, exec, s[14:15]
	s_waitcnt lgkmcnt(0)
	s_barrier
	ds_read_b64 v[48:49], v83
	ds_read_b64 v[58:59], v83 offset:2288
	ds_read_b64 v[56:57], v83 offset:4576
	ds_read_b64 v[54:55], v83 offset:6864
	ds_read_b64 v[52:53], v83 offset:9152
	ds_read_b64 v[50:51], v83 offset:11440
	s_and_saveexec_b64 s[2:3], s[4:5]
	s_cbranch_execz .LBB0_27
; %bb.26:
	ds_read_b64 v[38:39], v83 offset:1248
	ds_read_b64 v[40:41], v83 offset:3536
	;; [unrolled: 1-line block ×6, first 2 shown]
.LBB0_27:
	s_or_b64 exec, exec, s[2:3]
	s_waitcnt lgkmcnt(4)
	v_mul_f32_e32 v61, v13, v59
	v_mul_f32_e32 v13, v13, v58
	v_fmac_f32_e32 v61, v12, v58
	v_fma_f32 v13, v12, v59, -v13
	s_waitcnt lgkmcnt(3)
	v_mul_f32_e32 v12, v15, v57
	v_mul_f32_e32 v15, v15, v56
	v_fmac_f32_e32 v12, v14, v56
	v_fma_f32 v14, v14, v57, -v15
	;; [unrolled: 5-line block ×4, first 2 shown]
	s_waitcnt lgkmcnt(0)
	v_mul_f32_e32 v11, v78, v51
	v_fmac_f32_e32 v11, v77, v50
	v_mul_f32_e32 v50, v78, v50
	v_add_f32_e32 v52, v12, v9
	v_fma_f32 v50, v77, v51, -v50
	v_add_f32_e32 v51, v48, v12
	v_fma_f32 v48, -0.5, v52, v48
	v_sub_f32_e32 v52, v14, v10
	v_mov_b32_e32 v53, v48
	v_fmac_f32_e32 v53, 0xbf5db3d7, v52
	v_fmac_f32_e32 v48, 0x3f5db3d7, v52
	v_add_f32_e32 v52, v49, v14
	v_add_f32_e32 v52, v52, v10
	;; [unrolled: 1-line block ×3, first 2 shown]
	v_fmac_f32_e32 v49, -0.5, v10
	v_add_f32_e32 v51, v51, v9
	v_sub_f32_e32 v9, v12, v9
	v_mov_b32_e32 v54, v49
	v_fmac_f32_e32 v54, 0x3f5db3d7, v9
	v_fmac_f32_e32 v49, 0xbf5db3d7, v9
	v_add_f32_e32 v9, v61, v15
	v_add_f32_e32 v14, v9, v11
	;; [unrolled: 1-line block ×3, first 2 shown]
	v_fmac_f32_e32 v61, -0.5, v9
	v_sub_f32_e32 v9, v8, v50
	v_mov_b32_e32 v55, v61
	v_fmac_f32_e32 v55, 0xbf5db3d7, v9
	v_fmac_f32_e32 v61, 0x3f5db3d7, v9
	v_add_f32_e32 v9, v13, v8
	v_add_f32_e32 v8, v8, v50
	v_fmac_f32_e32 v13, -0.5, v8
	v_sub_f32_e32 v8, v15, v11
	v_mov_b32_e32 v11, v13
	v_fmac_f32_e32 v11, 0x3f5db3d7, v8
	v_fmac_f32_e32 v13, 0xbf5db3d7, v8
	v_mul_f32_e32 v15, 0xbf5db3d7, v11
	v_mul_f32_e32 v58, 0.5, v11
	v_add_f32_e32 v56, v9, v50
	v_fmac_f32_e32 v15, 0.5, v55
	v_mul_f32_e32 v57, 0xbf5db3d7, v13
	v_fmac_f32_e32 v58, 0x3f5db3d7, v55
	v_mul_f32_e32 v55, -0.5, v13
	v_add_f32_e32 v8, v51, v14
	v_add_f32_e32 v10, v53, v15
	v_fmac_f32_e32 v57, -0.5, v61
	v_add_f32_e32 v9, v52, v56
	v_add_f32_e32 v11, v54, v58
	v_fmac_f32_e32 v55, 0x3f5db3d7, v61
	v_add_f32_e32 v12, v48, v57
	v_add_f32_e32 v13, v49, v55
	v_sub_f32_e32 v14, v51, v14
	v_sub_f32_e32 v50, v53, v15
	;; [unrolled: 1-line block ×6, first 2 shown]
	s_barrier
	ds_write2_b64 v95, v[8:9], v[10:11] offset1:26
	ds_write2_b64 v95, v[12:13], v[14:15] offset0:52 offset1:78
	ds_write2_b64 v95, v[50:51], v[48:49] offset0:104 offset1:130
	s_and_saveexec_b64 s[2:3], s[4:5]
	s_cbranch_execz .LBB0_29
; %bb.28:
	v_mul_f32_e32 v13, v1, v43
	v_mul_f32_e32 v1, v1, v42
	v_fmac_f32_e32 v13, v0, v42
	v_mul_f32_e32 v14, v64, v37
	v_fma_f32 v0, v0, v43, -v1
	v_mul_f32_e32 v1, v64, v36
	v_mul_f32_e32 v12, v5, v41
	v_fmac_f32_e32 v14, v63, v36
	v_fma_f32 v36, v63, v37, -v1
	v_mul_f32_e32 v1, v5, v40
	v_mul_f32_e32 v8, v7, v44
	;; [unrolled: 1-line block ×3, first 2 shown]
	v_fmac_f32_e32 v12, v4, v40
	v_fma_f32 v4, v4, v41, -v1
	v_add_f32_e32 v1, v0, v36
	v_fma_f32 v8, v6, v45, -v8
	v_mul_f32_e32 v9, v3, v46
	v_fmac_f32_e32 v7, v6, v44
	v_mul_f32_e32 v6, v3, v47
	v_add_f32_e32 v3, v13, v14
	v_fma_f32 v40, -0.5, v1, v4
	v_fma_f32 v9, v2, v47, -v9
	v_fma_f32 v15, -0.5, v3, v12
	v_sub_f32_e32 v5, v13, v14
	v_mov_b32_e32 v41, v40
	v_add_f32_e32 v10, v9, v8
	v_sub_f32_e32 v3, v0, v36
	v_mov_b32_e32 v37, v15
	v_fmac_f32_e32 v41, 0xbf5db3d7, v5
	v_fma_f32 v10, -0.5, v10, v39
	v_fmac_f32_e32 v6, v2, v46
	v_fmac_f32_e32 v37, 0x3f5db3d7, v3
	v_mul_f32_e32 v42, -0.5, v41
	v_fmac_f32_e32 v40, 0x3f5db3d7, v5
	v_add_f32_e32 v0, v4, v0
	v_mul_f32_e32 v41, 0xbf5db3d7, v41
	v_sub_f32_e32 v2, v7, v6
	v_mov_b32_e32 v11, v10
	v_fmac_f32_e32 v42, 0x3f5db3d7, v37
	v_fmac_f32_e32 v15, 0xbf5db3d7, v3
	v_mul_f32_e32 v43, 0.5, v40
	v_add_f32_e32 v36, v0, v36
	v_add_f32_e32 v0, v6, v7
	v_fmac_f32_e32 v41, -0.5, v37
	v_mul_f32_e32 v37, 0xbf5db3d7, v40
	v_add_f32_e32 v4, v38, v7
	v_fmac_f32_e32 v11, 0xbf5db3d7, v2
	v_fmac_f32_e32 v10, 0x3f5db3d7, v2
	;; [unrolled: 1-line block ×3, first 2 shown]
	v_add_f32_e32 v2, v8, v39
	v_fma_f32 v44, -0.5, v0, v38
	v_fmac_f32_e32 v37, 0.5, v15
	v_add_f32_e32 v15, v6, v4
	v_add_f32_e32 v4, v12, v13
	;; [unrolled: 1-line block ×3, first 2 shown]
	v_sub_f32_e32 v2, v8, v9
	v_mov_b32_e32 v8, v44
	v_add_f32_e32 v12, v4, v14
	s_movk_i32 s4, 0x9c
	v_sub_f32_e32 v3, v10, v43
	v_fmac_f32_e32 v8, 0x3f5db3d7, v2
	v_fmac_f32_e32 v44, 0xbf5db3d7, v2
	v_sub_f32_e32 v4, v15, v12
	v_add_f32_e32 v9, v43, v10
	v_add_f32_e32 v10, v12, v15
	v_mad_legacy_u16 v12, v86, s4, v87
	v_sub_f32_e32 v1, v11, v42
	v_sub_f32_e32 v0, v8, v41
	v_add_f32_e32 v7, v42, v11
	v_add_f32_e32 v11, v36, v39
	;; [unrolled: 1-line block ×4, first 2 shown]
	v_lshlrev_b32_e32 v12, 3, v12
	v_sub_f32_e32 v5, v39, v36
	v_sub_f32_e32 v2, v44, v37
	ds_write2_b64 v12, v[10:11], v[8:9] offset1:26
	ds_write2_b64 v12, v[6:7], v[4:5] offset0:52 offset1:78
	ds_write2_b64 v12, v[2:3], v[0:1] offset0:104 offset1:130
.LBB0_29:
	s_or_b64 exec, exec, s[2:3]
	s_waitcnt lgkmcnt(0)
	s_barrier
	ds_read2_b64 v[0:3], v83 offset1:156
	v_add_u32_e32 v42, 0x800, v83
	ds_read2_b64 v[4:7], v42 offset0:56 offset1:212
	ds_read_b64 v[40:41], v83 offset:4992
	v_add_u32_e32 v8, 0x1800, v83
	ds_read2_b64 v[8:11], v8 offset0:12 offset1:168
	s_waitcnt lgkmcnt(3)
	v_mul_f32_e32 v43, v29, v3
	v_add_u32_e32 v12, 0x2000, v83
	v_fmac_f32_e32 v43, v28, v2
	v_mul_f32_e32 v2, v29, v2
	ds_read2_b64 v[12:15], v12 offset0:68 offset1:224
	v_fma_f32 v28, v28, v3, -v2
	s_waitcnt lgkmcnt(3)
	v_mul_f32_e32 v29, v31, v5
	v_mul_f32_e32 v2, v31, v4
	v_add_u32_e32 v36, 0x2a00, v83
	v_fmac_f32_e32 v29, v30, v4
	v_fma_f32 v4, v30, v5, -v2
	v_mul_f32_e32 v5, v25, v7
	v_mul_f32_e32 v2, v25, v6
	ds_read2_b64 v[36:39], v36 offset0:60 offset1:216
	v_fmac_f32_e32 v5, v24, v6
	v_fma_f32 v6, v24, v7, -v2
	s_waitcnt lgkmcnt(3)
	v_mul_f32_e32 v2, v27, v40
	v_fma_f32 v24, v26, v41, -v2
	s_waitcnt lgkmcnt(2)
	v_mul_f32_e32 v25, v21, v9
	v_mul_f32_e32 v2, v21, v8
	v_fmac_f32_e32 v25, v20, v8
	v_fma_f32 v8, v20, v9, -v2
	v_mul_f32_e32 v9, v23, v11
	v_mul_f32_e32 v2, v23, v10
	v_add_f32_e32 v3, v1, v28
	v_fmac_f32_e32 v9, v22, v10
	v_fma_f32 v10, v22, v11, -v2
	s_waitcnt lgkmcnt(1)
	v_mul_f32_e32 v11, v17, v13
	v_mul_f32_e32 v2, v17, v12
	v_add_f32_e32 v3, v3, v4
	v_fmac_f32_e32 v11, v16, v12
	v_fma_f32 v12, v16, v13, -v2
	v_mul_f32_e32 v13, v19, v15
	v_mul_f32_e32 v2, v19, v14
	v_add_f32_e32 v3, v3, v6
	v_fmac_f32_e32 v13, v18, v14
	v_fma_f32 v14, v18, v15, -v2
	s_waitcnt lgkmcnt(0)
	v_mul_f32_e32 v2, v33, v36
	v_add_f32_e32 v3, v3, v24
	v_fma_f32 v16, v32, v37, -v2
	v_mul_f32_e32 v2, v35, v38
	v_add_f32_e32 v3, v3, v8
	v_fma_f32 v18, v34, v39, -v2
	v_add_f32_e32 v2, v0, v43
	v_add_f32_e32 v3, v3, v10
	v_mul_f32_e32 v7, v27, v41
	v_add_f32_e32 v2, v2, v29
	v_add_f32_e32 v3, v3, v12
	v_fmac_f32_e32 v7, v26, v40
	v_add_f32_e32 v2, v2, v5
	v_add_f32_e32 v3, v3, v14
	;; [unrolled: 1-line block ×4, first 2 shown]
	v_mul_f32_e32 v15, v33, v37
	v_mul_f32_e32 v17, v35, v39
	v_add_f32_e32 v2, v2, v25
	v_add_f32_e32 v3, v3, v18
	;; [unrolled: 1-line block ×3, first 2 shown]
	v_sub_f32_e32 v18, v28, v18
	v_fmac_f32_e32 v15, v32, v36
	v_fmac_f32_e32 v17, v34, v38
	v_add_f32_e32 v2, v2, v9
	v_mul_f32_e32 v21, 0xbf0a6770, v18
	v_mul_f32_e32 v27, 0xbf68dda4, v18
	;; [unrolled: 1-line block ×5, first 2 shown]
	v_add_f32_e32 v2, v2, v11
	v_add_f32_e32 v19, v43, v17
	s_mov_b32 s5, 0x3f575c64
	v_mov_b32_e32 v22, v21
	s_mov_b32 s3, 0x3ed4b147
	v_mov_b32_e32 v28, v27
	;; [unrolled: 2-line block ×5, first 2 shown]
	v_add_f32_e32 v2, v2, v13
	v_fmac_f32_e32 v22, 0x3f575c64, v19
	v_fma_f32 v21, v19, s5, -v21
	v_fmac_f32_e32 v28, 0x3ed4b147, v19
	v_fma_f32 v27, v19, s3, -v27
	;; [unrolled: 2-line block ×5, first 2 shown]
	v_add_f32_e32 v2, v2, v15
	v_add_f32_e32 v22, v0, v22
	v_mul_f32_e32 v23, 0x3f575c64, v20
	v_add_f32_e32 v21, v0, v21
	v_add_f32_e32 v28, v0, v28
	v_mul_f32_e32 v30, 0x3ed4b147, v20
	;; [unrolled: 3-line block ×5, first 2 shown]
	v_add_f32_e32 v0, v0, v18
	v_add_f32_e32 v18, v4, v16
	v_sub_f32_e32 v4, v4, v16
	v_add_f32_e32 v2, v2, v17
	v_sub_f32_e32 v17, v43, v17
	v_mov_b32_e32 v26, v23
	v_mov_b32_e32 v31, v30
	;; [unrolled: 1-line block ×5, first 2 shown]
	v_mul_f32_e32 v16, 0xbf68dda4, v4
	v_fmac_f32_e32 v26, 0x3f0a6770, v17
	v_fmac_f32_e32 v23, 0xbf0a6770, v17
	;; [unrolled: 1-line block ×10, first 2 shown]
	v_add_f32_e32 v17, v29, v15
	v_mov_b32_e32 v19, v16
	v_add_f32_e32 v26, v1, v26
	v_add_f32_e32 v23, v1, v23
	;; [unrolled: 1-line block ×10, first 2 shown]
	v_sub_f32_e32 v15, v29, v15
	v_fmac_f32_e32 v19, 0x3ed4b147, v17
	v_mul_f32_e32 v20, 0x3ed4b147, v18
	v_fma_f32 v16, v17, s3, -v16
	v_add_f32_e32 v19, v19, v22
	v_mov_b32_e32 v22, v20
	v_add_f32_e32 v16, v16, v21
	v_fmac_f32_e32 v20, 0xbf68dda4, v15
	v_mul_f32_e32 v21, 0xbf4178ce, v4
	v_fmac_f32_e32 v22, 0x3f68dda4, v15
	v_add_f32_e32 v20, v20, v23
	v_mov_b32_e32 v23, v21
	v_fma_f32 v21, v17, s14, -v21
	v_add_f32_e32 v22, v22, v26
	v_fmac_f32_e32 v23, 0xbf27a4f4, v17
	v_mul_f32_e32 v26, 0xbf27a4f4, v18
	v_add_f32_e32 v21, v21, v27
	v_mul_f32_e32 v27, 0x3e903f40, v4
	v_add_f32_e32 v23, v23, v28
	v_mov_b32_e32 v28, v26
	v_fmac_f32_e32 v26, 0xbf4178ce, v15
	v_mov_b32_e32 v29, v27
	v_fma_f32 v27, v17, s15, -v27
	v_fmac_f32_e32 v28, 0x3f4178ce, v15
	v_add_f32_e32 v26, v26, v30
	v_fmac_f32_e32 v29, 0xbf75a155, v17
	v_mul_f32_e32 v30, 0xbf75a155, v18
	v_add_f32_e32 v27, v27, v32
	v_mul_f32_e32 v32, 0x3f7d64f0, v4
	v_add_f32_e32 v28, v28, v31
	v_add_f32_e32 v29, v29, v33
	v_mov_b32_e32 v31, v30
	v_fmac_f32_e32 v30, 0x3e903f40, v15
	v_mov_b32_e32 v33, v32
	v_fmac_f32_e32 v31, 0xbe903f40, v15
	v_add_f32_e32 v30, v30, v34
	v_fmac_f32_e32 v33, 0xbe11bafb, v17
	v_mul_f32_e32 v34, 0xbe11bafb, v18
	v_mul_f32_e32 v18, 0x3f575c64, v18
	v_add_f32_e32 v31, v31, v35
	v_add_f32_e32 v33, v33, v37
	v_mov_b32_e32 v35, v34
	v_fma_f32 v32, v17, s4, -v32
	v_mul_f32_e32 v4, 0x3f0a6770, v4
	v_mov_b32_e32 v37, v18
	v_fmac_f32_e32 v35, 0xbf7d64f0, v15
	v_add_f32_e32 v32, v32, v36
	v_fmac_f32_e32 v34, 0x3f7d64f0, v15
	v_mov_b32_e32 v36, v4
	v_fmac_f32_e32 v37, 0xbf0a6770, v15
	v_fma_f32 v4, v17, s5, -v4
	v_fmac_f32_e32 v18, 0x3f0a6770, v15
	v_add_f32_e32 v15, v6, v14
	v_sub_f32_e32 v6, v6, v14
	v_fmac_f32_e32 v36, 0x3f575c64, v17
	v_add_f32_e32 v0, v4, v0
	v_add_f32_e32 v4, v5, v13
	v_sub_f32_e32 v5, v5, v13
	v_mul_f32_e32 v13, 0xbf7d64f0, v6
	v_mul_f32_e32 v17, 0xbe11bafb, v15
	v_add_f32_e32 v1, v18, v1
	v_mov_b32_e32 v14, v13
	v_mov_b32_e32 v18, v17
	v_fma_f32 v13, v4, s4, -v13
	v_fmac_f32_e32 v17, 0xbf7d64f0, v5
	v_fmac_f32_e32 v14, 0xbe11bafb, v4
	v_add_f32_e32 v13, v13, v16
	v_add_f32_e32 v16, v17, v20
	v_mul_f32_e32 v17, 0x3e903f40, v6
	v_add_f32_e32 v14, v14, v19
	v_mov_b32_e32 v19, v17
	v_fma_f32 v17, v4, s15, -v17
	v_fmac_f32_e32 v19, 0xbf75a155, v4
	v_add_f32_e32 v17, v17, v21
	v_mul_f32_e32 v21, 0x3f68dda4, v6
	v_add_f32_e32 v19, v19, v23
	v_mov_b32_e32 v23, v21
	v_fma_f32 v21, v4, s3, -v21
	v_fmac_f32_e32 v18, 0x3f7d64f0, v5
	v_mul_f32_e32 v20, 0xbf75a155, v15
	v_fmac_f32_e32 v23, 0x3ed4b147, v4
	v_add_f32_e32 v21, v21, v27
	v_mul_f32_e32 v27, 0xbf0a6770, v6
	v_add_f32_e32 v18, v18, v22
	v_mov_b32_e32 v22, v20
	v_fmac_f32_e32 v20, 0x3e903f40, v5
	v_add_f32_e32 v23, v23, v29
	v_mov_b32_e32 v29, v27
	v_fma_f32 v27, v4, s5, -v27
	v_mul_f32_e32 v6, 0xbf4178ce, v6
	v_fmac_f32_e32 v22, 0xbe903f40, v5
	v_add_f32_e32 v20, v20, v26
	v_mul_f32_e32 v26, 0x3ed4b147, v15
	v_add_f32_e32 v27, v27, v32
	v_mov_b32_e32 v32, v6
	v_add_f32_e32 v22, v22, v28
	v_mov_b32_e32 v28, v26
	v_fmac_f32_e32 v26, 0x3f68dda4, v5
	v_fmac_f32_e32 v29, 0x3f575c64, v4
	;; [unrolled: 1-line block ×3, first 2 shown]
	v_fma_f32 v4, v4, s14, -v6
	v_fmac_f32_e32 v28, 0xbf68dda4, v5
	v_add_f32_e32 v26, v26, v30
	v_mul_f32_e32 v30, 0x3f575c64, v15
	v_mul_f32_e32 v15, 0xbf27a4f4, v15
	v_add_f32_e32 v0, v4, v0
	v_add_f32_e32 v4, v7, v11
	v_sub_f32_e32 v6, v7, v11
	v_sub_f32_e32 v7, v24, v12
	v_add_f32_e32 v28, v28, v31
	v_add_f32_e32 v29, v29, v33
	v_mov_b32_e32 v31, v30
	v_mov_b32_e32 v33, v15
	v_mul_f32_e32 v11, 0xbf4178ce, v7
	v_fmac_f32_e32 v31, 0x3f0a6770, v5
	v_fmac_f32_e32 v30, 0xbf0a6770, v5
	v_fmac_f32_e32 v33, 0x3f4178ce, v5
	v_fmac_f32_e32 v15, 0xbf4178ce, v5
	v_add_f32_e32 v5, v24, v12
	v_mov_b32_e32 v12, v11
	v_fmac_f32_e32 v12, 0xbf27a4f4, v4
	v_add_f32_e32 v12, v12, v14
	v_mul_f32_e32 v14, 0xbf27a4f4, v5
	v_add_f32_e32 v1, v15, v1
	v_mov_b32_e32 v15, v14
	v_fma_f32 v11, v4, s14, -v11
	v_fmac_f32_e32 v14, 0xbf4178ce, v6
	v_add_f32_e32 v11, v11, v13
	v_add_f32_e32 v13, v14, v16
	v_mul_f32_e32 v14, 0x3f7d64f0, v7
	v_fmac_f32_e32 v15, 0x3f4178ce, v6
	v_mov_b32_e32 v16, v14
	v_add_f32_e32 v15, v15, v18
	v_fmac_f32_e32 v16, 0xbe11bafb, v4
	v_mul_f32_e32 v18, 0xbe11bafb, v5
	v_add_f32_e32 v16, v16, v19
	v_mov_b32_e32 v19, v18
	v_fma_f32 v14, v4, s4, -v14
	v_fmac_f32_e32 v18, 0x3f7d64f0, v6
	v_add_f32_e32 v14, v14, v17
	v_add_f32_e32 v17, v18, v20
	v_mul_f32_e32 v18, 0xbf0a6770, v7
	v_fmac_f32_e32 v19, 0xbf7d64f0, v6
	v_mov_b32_e32 v20, v18
	v_add_f32_e32 v19, v19, v22
	v_fmac_f32_e32 v20, 0x3f575c64, v4
	v_mul_f32_e32 v22, 0x3f575c64, v5
	v_add_f32_e32 v20, v20, v23
	v_mov_b32_e32 v23, v22
	v_fma_f32 v18, v4, s5, -v18
	v_fmac_f32_e32 v22, 0xbf0a6770, v6
	v_add_f32_e32 v18, v18, v21
	v_add_f32_e32 v21, v22, v26
	v_mul_f32_e32 v22, 0xbe903f40, v7
	v_mov_b32_e32 v24, v22
	v_fma_f32 v22, v4, s15, -v22
	v_mul_f32_e32 v7, 0x3f68dda4, v7
	v_add_f32_e32 v34, v34, v38
	v_fmac_f32_e32 v23, 0x3f0a6770, v6
	v_fmac_f32_e32 v24, 0xbf75a155, v4
	v_mul_f32_e32 v26, 0xbf75a155, v5
	v_add_f32_e32 v22, v22, v27
	v_mov_b32_e32 v27, v7
	v_mul_f32_e32 v5, 0x3ed4b147, v5
	v_add_f32_e32 v36, v36, v40
	v_add_f32_e32 v37, v37, v41
	;; [unrolled: 1-line block ×5, first 2 shown]
	v_mov_b32_e32 v28, v26
	v_fmac_f32_e32 v26, 0xbe903f40, v6
	v_fmac_f32_e32 v27, 0x3ed4b147, v4
	v_mov_b32_e32 v29, v5
	v_fma_f32 v4, v4, s3, -v7
	v_sub_f32_e32 v34, v8, v10
	v_add_f32_e32 v35, v35, v39
	v_add_f32_e32 v32, v32, v36
	;; [unrolled: 1-line block ×4, first 2 shown]
	v_fmac_f32_e32 v29, 0xbf68dda4, v6
	v_add_f32_e32 v30, v4, v0
	v_mul_f32_e32 v4, 0xbe903f40, v34
	v_add_f32_e32 v31, v31, v35
	v_fmac_f32_e32 v28, 0x3e903f40, v6
	v_add_f32_e32 v27, v27, v32
	v_add_f32_e32 v29, v29, v33
	v_fmac_f32_e32 v5, 0x3f68dda4, v6
	v_add_f32_e32 v32, v25, v9
	v_add_f32_e32 v33, v8, v10
	v_mov_b32_e32 v0, v4
	v_add_f32_e32 v28, v28, v31
	v_add_f32_e32 v31, v5, v1
	v_sub_f32_e32 v25, v25, v9
	v_fmac_f32_e32 v0, 0xbf75a155, v32
	v_mul_f32_e32 v5, 0xbf75a155, v33
	v_add_f32_e32 v0, v0, v12
	v_mov_b32_e32 v1, v5
	v_fmac_f32_e32 v5, 0xbe903f40, v25
	v_mul_f32_e32 v8, 0x3f0a6770, v34
	v_mul_f32_e32 v12, 0xbf4178ce, v34
	v_fma_f32 v4, v32, s15, -v4
	v_add_f32_e32 v5, v5, v13
	v_mov_b32_e32 v6, v8
	v_mul_f32_e32 v9, 0x3f575c64, v33
	v_mov_b32_e32 v10, v12
	v_mul_f32_e32 v13, 0xbf27a4f4, v33
	v_add_f32_e32 v4, v4, v11
	v_fmac_f32_e32 v6, 0x3f575c64, v32
	v_mov_b32_e32 v7, v9
	v_fmac_f32_e32 v9, 0x3f0a6770, v25
	v_fmac_f32_e32 v10, 0xbf27a4f4, v32
	v_mov_b32_e32 v11, v13
	v_fmac_f32_e32 v13, 0xbf4178ce, v25
	v_fmac_f32_e32 v1, 0x3e903f40, v25
	v_add_f32_e32 v6, v6, v16
	v_fmac_f32_e32 v7, 0xbf0a6770, v25
	v_fma_f32 v8, v32, s5, -v8
	v_add_f32_e32 v9, v9, v17
	v_add_f32_e32 v10, v10, v20
	v_fma_f32 v12, v32, s14, -v12
	v_add_f32_e32 v13, v13, v21
	v_mul_f32_e32 v16, 0x3f68dda4, v34
	v_mul_f32_e32 v17, 0x3ed4b147, v33
	;; [unrolled: 1-line block ×4, first 2 shown]
	v_add_f32_e32 v1, v1, v15
	v_add_f32_e32 v7, v7, v19
	;; [unrolled: 1-line block ×4, first 2 shown]
	v_mov_b32_e32 v14, v16
	v_mov_b32_e32 v15, v17
	;; [unrolled: 1-line block ×4, first 2 shown]
	v_fmac_f32_e32 v11, 0x3f4178ce, v25
	v_fmac_f32_e32 v14, 0x3ed4b147, v32
	;; [unrolled: 1-line block ×3, first 2 shown]
	v_fma_f32 v16, v32, s3, -v16
	v_fmac_f32_e32 v17, 0x3f68dda4, v25
	v_fmac_f32_e32 v18, 0xbe11bafb, v32
	;; [unrolled: 1-line block ×3, first 2 shown]
	v_fma_f32 v20, v32, s4, -v20
	v_fmac_f32_e32 v21, 0xbf7d64f0, v25
	s_movk_i32 s2, 0x2000
	v_add_f32_e32 v11, v11, v23
	v_add_f32_e32 v14, v14, v24
	;; [unrolled: 1-line block ×9, first 2 shown]
	ds_write2_b64 v83, v[2:3], v[0:1] offset1:156
	ds_write2_b64 v42, v[6:7], v[10:11] offset0:56 offset1:212
	ds_write_b64 v83, v[14:15] offset:4992
	ds_write_b64 v83, v[18:19] offset:6240
	v_add_u32_e32 v1, 0x1c00, v83
	v_add_u32_e32 v0, 0x2400, v83
	ds_write2_b64 v1, v[20:21], v[16:17] offset0:40 offset1:196
	ds_write2_b64 v0, v[12:13], v[8:9] offset0:96 offset1:252
	ds_write_b64 v83, v[4:5] offset:12480
	s_waitcnt lgkmcnt(0)
	s_barrier
	s_and_b64 exec, exec, s[0:1]
	s_cbranch_execz .LBB0_31
; %bb.30:
	global_load_dwordx2 v[10:11], v83, s[12:13]
	global_load_dwordx2 v[12:13], v83, s[12:13] offset:1056
	global_load_dwordx2 v[14:15], v83, s[12:13] offset:2112
	;; [unrolled: 1-line block ×3, first 2 shown]
	v_mov_b32_e32 v2, s13
	v_add_co_u32_e32 v37, vcc, s12, v83
	v_mov_b32_e32 v36, s7
	s_movk_i32 s7, 0x1000
	v_addc_co_u32_e32 v38, vcc, 0, v2, vcc
	v_add_co_u32_e32 v24, vcc, s7, v37
	v_addc_co_u32_e32 v25, vcc, 0, v38, vcc
	global_load_dwordx2 v[26:27], v[24:25], off offset:128
	v_mad_u64_u32 v[20:21], s[0:1], s10, v60, 0
	v_mad_u64_u32 v[22:23], s[4:5], s8, v84, 0
	v_add_u32_e32 v3, 0x400, v83
	s_mul_i32 s4, s9, 0x420
	v_mad_u64_u32 v[28:29], s[10:11], s11, v60, v[21:22]
	s_mul_hi_u32 s5, s8, 0x420
	s_mul_i32 s3, s8, 0x420
	v_add_u32_e32 v6, 0xc00, v83
	v_mad_u64_u32 v[29:30], s[8:9], s9, v84, v[23:24]
	ds_read_b64 v[18:19], v83
	ds_read2_b64 v[2:5], v3 offset0:4 offset1:136
	ds_read2_b64 v[6:9], v6 offset0:12 offset1:144
	global_load_dwordx2 v[30:31], v[24:25], off offset:1184
	global_load_dwordx2 v[32:33], v[24:25], off offset:2240
	;; [unrolled: 1-line block ×3, first 2 shown]
	v_mov_b32_e32 v21, v28
	v_mov_b32_e32 v23, v29
	s_mov_b32 s0, 0x58e9ebb6
	s_mov_b32 s1, 0x3f431877
	v_lshlrev_b64 v[20:21], 3, v[20:21]
	v_lshlrev_b64 v[22:23], 3, v[22:23]
	v_add_co_u32_e32 v20, vcc, s6, v20
	v_addc_co_u32_e32 v21, vcc, v36, v21, vcc
	v_add_co_u32_e32 v20, vcc, v20, v22
	s_add_i32 s4, s5, s4
	v_addc_co_u32_e32 v21, vcc, v21, v23, vcc
	v_mov_b32_e32 v39, s4
	v_add_co_u32_e32 v22, vcc, s3, v20
	v_addc_co_u32_e32 v23, vcc, v21, v39, vcc
	v_mov_b32_e32 v40, s4
	s_waitcnt vmcnt(7) lgkmcnt(2)
	v_mul_f32_e32 v24, v19, v11
	v_mul_f32_e32 v11, v18, v11
	s_waitcnt vmcnt(6) lgkmcnt(1)
	v_mul_f32_e32 v25, v3, v13
	v_mul_f32_e32 v13, v2, v13
	s_waitcnt vmcnt(5)
	v_mul_f32_e32 v28, v5, v15
	v_mul_f32_e32 v15, v4, v15
	v_fmac_f32_e32 v24, v18, v10
	v_fma_f32 v10, v10, v19, -v11
	s_waitcnt vmcnt(4) lgkmcnt(0)
	v_mul_f32_e32 v29, v7, v17
	v_mul_f32_e32 v17, v6, v17
	v_fmac_f32_e32 v25, v2, v12
	v_fma_f32 v11, v12, v3, -v13
	v_fmac_f32_e32 v28, v4, v14
	v_fma_f32 v14, v14, v5, -v15
	v_cvt_f64_f32_e32 v[2:3], v24
	v_cvt_f64_f32_e32 v[4:5], v10
	v_fmac_f32_e32 v29, v6, v16
	v_fma_f32 v18, v16, v7, -v17
	v_cvt_f64_f32_e32 v[6:7], v25
	v_cvt_f64_f32_e32 v[10:11], v11
	v_mul_f64 v[2:3], v[2:3], s[0:1]
	v_mul_f64 v[4:5], v[4:5], s[0:1]
	v_cvt_f64_f32_e32 v[12:13], v28
	v_mul_f64 v[6:7], v[6:7], s[0:1]
	v_mul_f64 v[10:11], v[10:11], s[0:1]
	v_cvt_f64_f32_e32 v[14:15], v14
	v_mul_f64 v[12:13], v[12:13], s[0:1]
	v_cvt_f64_f32_e32 v[18:19], v18
	v_cvt_f32_f64_e32 v2, v[2:3]
	v_cvt_f32_f64_e32 v3, v[4:5]
	v_mul_f64 v[14:15], v[14:15], s[0:1]
	v_cvt_f32_f64_e32 v4, v[6:7]
	v_cvt_f32_f64_e32 v5, v[10:11]
	v_add_co_u32_e32 v10, vcc, s2, v37
	global_store_dwordx2 v[20:21], v[2:3], off
	global_store_dwordx2 v[22:23], v[4:5], off
	v_addc_co_u32_e32 v11, vcc, 0, v38, vcc
	v_cvt_f32_f64_e32 v6, v[12:13]
	global_load_dwordx2 v[12:13], v[10:11], off offset:256
	v_cvt_f64_f32_e32 v[16:17], v29
	v_mul_f64 v[2:3], v[18:19], s[0:1]
	global_load_dwordx2 v[18:19], v[10:11], off offset:1312
	v_cvt_f32_f64_e32 v7, v[14:15]
	v_mul_f64 v[16:17], v[16:17], s[0:1]
	s_waitcnt vmcnt(7)
	v_mul_f32_e32 v4, v9, v27
	v_fmac_f32_e32 v4, v8, v26
	v_add_co_u32_e32 v14, vcc, s3, v22
	v_cvt_f64_f32_e32 v[4:5], v4
	v_addc_co_u32_e32 v15, vcc, v23, v40, vcc
	global_store_dwordx2 v[14:15], v[6:7], off
	v_cvt_f32_f64_e32 v7, v[2:3]
	v_mul_f32_e32 v2, v8, v27
	v_fma_f32 v2, v26, v9, -v2
	v_cvt_f32_f64_e32 v6, v[16:17]
	v_mul_f64 v[16:17], v[4:5], s[0:1]
	v_cvt_f64_f32_e32 v[8:9], v2
	v_add_u32_e32 v2, 0x1400, v83
	ds_read2_b64 v[2:5], v2 offset0:20 offset1:152
	v_mov_b32_e32 v20, s4
	v_add_co_u32_e32 v14, vcc, s3, v14
	v_addc_co_u32_e32 v15, vcc, v15, v20, vcc
	global_load_dwordx2 v[20:21], v[10:11], off offset:2368
	v_mov_b32_e32 v22, s4
	global_store_dwordx2 v[14:15], v[6:7], off
	v_mul_f64 v[7:8], v[8:9], s[0:1]
	s_waitcnt vmcnt(9) lgkmcnt(0)
	v_mul_f32_e32 v9, v3, v31
	v_fmac_f32_e32 v9, v2, v30
	v_cvt_f32_f64_e32 v6, v[16:17]
	v_cvt_f64_f32_e32 v[16:17], v9
	v_add_co_u32_e32 v14, vcc, s3, v14
	v_mul_f32_e32 v2, v2, v31
	v_cvt_f32_f64_e32 v7, v[7:8]
	v_mul_f64 v[8:9], v[16:17], s[0:1]
	v_mov_b32_e32 v16, s4
	v_addc_co_u32_e32 v15, vcc, v15, v16, vcc
	global_store_dwordx2 v[14:15], v[6:7], off
	v_fma_f32 v2, v30, v3, -v2
	v_cvt_f64_f32_e32 v[2:3], v2
	v_add_co_u32_e32 v14, vcc, s3, v14
	v_cvt_f32_f64_e32 v6, v[8:9]
	global_load_dwordx2 v[8:9], v[10:11], off offset:3424
	v_mul_f64 v[2:3], v[2:3], s[0:1]
	v_addc_co_u32_e32 v15, vcc, v15, v22, vcc
	s_movk_i32 s2, 0x3000
	v_cvt_f32_f64_e32 v7, v[2:3]
	s_waitcnt vmcnt(10)
	v_mul_f32_e32 v2, v5, v33
	v_fmac_f32_e32 v2, v4, v32
	v_cvt_f64_f32_e32 v[10:11], v2
	v_mul_f32_e32 v2, v4, v33
	v_fma_f32 v2, v32, v5, -v2
	v_cvt_f64_f32_e32 v[16:17], v2
	ds_read2_b64 v[1:4], v1 offset0:28 offset1:160
	global_store_dwordx2 v[14:15], v[6:7], off
	v_mul_f64 v[5:6], v[10:11], s[0:1]
	v_mul_f64 v[10:11], v[16:17], s[0:1]
	v_add_co_u32_e32 v14, vcc, s3, v14
	s_waitcnt vmcnt(10) lgkmcnt(0)
	v_mul_f32_e32 v7, v2, v35
	v_fmac_f32_e32 v7, v1, v34
	v_mul_f32_e32 v1, v1, v35
	v_fma_f32 v1, v34, v2, -v1
	v_cvt_f64_f32_e32 v[1:2], v1
	v_cvt_f64_f32_e32 v[16:17], v7
	v_cvt_f32_f64_e32 v5, v[5:6]
	v_cvt_f32_f64_e32 v6, v[10:11]
	v_mul_f64 v[1:2], v[1:2], s[0:1]
	v_mul_f64 v[10:11], v[16:17], s[0:1]
	v_mov_b32_e32 v7, s4
	v_addc_co_u32_e32 v15, vcc, v15, v7, vcc
	global_store_dwordx2 v[14:15], v[5:6], off
	v_add_co_u32_e32 v14, vcc, s3, v14
	v_cvt_f32_f64_e32 v6, v[1:2]
	s_waitcnt vmcnt(8)
	v_mul_f32_e32 v1, v4, v13
	v_fmac_f32_e32 v1, v3, v12
	v_cvt_f32_f64_e32 v5, v[10:11]
	v_cvt_f64_f32_e32 v[10:11], v1
	v_mul_f32_e32 v1, v3, v13
	v_fma_f32 v1, v12, v4, -v1
	v_cvt_f64_f32_e32 v[12:13], v1
	ds_read2_b64 v[0:3], v0 offset0:36 offset1:168
	v_addc_co_u32_e32 v15, vcc, v15, v7, vcc
	global_store_dwordx2 v[14:15], v[5:6], off
	v_mul_f64 v[4:5], v[10:11], s[0:1]
	s_waitcnt vmcnt(8) lgkmcnt(0)
	v_mul_f32_e32 v10, v1, v19
	v_mul_f64 v[6:7], v[12:13], s[0:1]
	v_fmac_f32_e32 v10, v0, v18
	v_mul_f32_e32 v0, v0, v19
	v_fma_f32 v0, v18, v1, -v0
	v_cvt_f64_f32_e32 v[0:1], v0
	v_cvt_f64_f32_e32 v[10:11], v10
	v_cvt_f32_f64_e32 v4, v[4:5]
	v_mul_f64 v[0:1], v[0:1], s[0:1]
	v_cvt_f32_f64_e32 v5, v[6:7]
	v_mul_f64 v[6:7], v[10:11], s[0:1]
	v_mov_b32_e32 v11, s4
	v_add_co_u32_e32 v10, vcc, s3, v14
	v_addc_co_u32_e32 v11, vcc, v15, v11, vcc
	global_store_dwordx2 v[10:11], v[4:5], off
	v_cvt_f32_f64_e32 v5, v[0:1]
	s_waitcnt vmcnt(7)
	v_mul_f32_e32 v0, v3, v21
	v_fmac_f32_e32 v0, v2, v20
	v_cvt_f32_f64_e32 v4, v[6:7]
	v_cvt_f64_f32_e32 v[6:7], v0
	v_mul_f32_e32 v0, v2, v21
	v_fma_f32 v0, v20, v3, -v0
	v_cvt_f64_f32_e32 v[12:13], v0
	v_add_u32_e32 v0, 0x2c00, v83
	ds_read2_b64 v[0:3], v0 offset0:44 offset1:176
	v_mov_b32_e32 v14, s4
	v_add_co_u32_e32 v10, vcc, s3, v10
	v_addc_co_u32_e32 v11, vcc, v11, v14, vcc
	global_store_dwordx2 v[10:11], v[4:5], off
	v_mul_f64 v[4:5], v[6:7], s[0:1]
	v_mul_f64 v[6:7], v[12:13], s[0:1]
	s_waitcnt vmcnt(5) lgkmcnt(0)
	v_mul_f32_e32 v12, v1, v9
	v_fmac_f32_e32 v12, v0, v8
	v_mul_f32_e32 v0, v0, v9
	v_fma_f32 v0, v8, v1, -v0
	v_cvt_f64_f32_e32 v[12:13], v12
	v_cvt_f64_f32_e32 v[0:1], v0
	v_cvt_f32_f64_e32 v4, v[4:5]
	v_cvt_f32_f64_e32 v5, v[6:7]
	v_mul_f64 v[6:7], v[12:13], s[0:1]
	v_mul_f64 v[0:1], v[0:1], s[0:1]
	v_mov_b32_e32 v9, s4
	v_add_co_u32_e32 v8, vcc, s3, v10
	v_addc_co_u32_e32 v9, vcc, v11, v9, vcc
	global_store_dwordx2 v[8:9], v[4:5], off
	v_cvt_f32_f64_e32 v4, v[6:7]
	v_cvt_f32_f64_e32 v5, v[0:1]
	v_mov_b32_e32 v1, s4
	v_add_co_u32_e32 v0, vcc, s3, v8
	v_addc_co_u32_e32 v1, vcc, v9, v1, vcc
	global_store_dwordx2 v[0:1], v[4:5], off
	v_add_co_u32_e32 v4, vcc, s2, v37
	v_addc_co_u32_e32 v5, vcc, 0, v38, vcc
	global_load_dwordx2 v[4:5], v[4:5], off offset:384
	v_add_co_u32_e32 v0, vcc, s3, v0
	s_waitcnt vmcnt(0)
	v_mul_f32_e32 v6, v3, v5
	v_fmac_f32_e32 v6, v2, v4
	v_mul_f32_e32 v2, v2, v5
	v_fma_f32 v2, v4, v3, -v2
	v_cvt_f64_f32_e32 v[6:7], v6
	v_cvt_f64_f32_e32 v[2:3], v2
	v_mul_f64 v[4:5], v[6:7], s[0:1]
	v_mul_f64 v[2:3], v[2:3], s[0:1]
	v_cvt_f32_f64_e32 v4, v[4:5]
	v_cvt_f32_f64_e32 v5, v[2:3]
	v_mov_b32_e32 v2, s4
	v_addc_co_u32_e32 v1, vcc, v1, v2, vcc
	global_store_dwordx2 v[0:1], v[4:5], off
.LBB0_31:
	s_endpgm
	.section	.rodata,"a",@progbits
	.p2align	6, 0x0
	.amdhsa_kernel bluestein_single_fwd_len1716_dim1_sp_op_CI_CI
		.amdhsa_group_segment_fixed_size 13728
		.amdhsa_private_segment_fixed_size 0
		.amdhsa_kernarg_size 104
		.amdhsa_user_sgpr_count 6
		.amdhsa_user_sgpr_private_segment_buffer 1
		.amdhsa_user_sgpr_dispatch_ptr 0
		.amdhsa_user_sgpr_queue_ptr 0
		.amdhsa_user_sgpr_kernarg_segment_ptr 1
		.amdhsa_user_sgpr_dispatch_id 0
		.amdhsa_user_sgpr_flat_scratch_init 0
		.amdhsa_user_sgpr_private_segment_size 0
		.amdhsa_uses_dynamic_stack 0
		.amdhsa_system_sgpr_private_segment_wavefront_offset 0
		.amdhsa_system_sgpr_workgroup_id_x 1
		.amdhsa_system_sgpr_workgroup_id_y 0
		.amdhsa_system_sgpr_workgroup_id_z 0
		.amdhsa_system_sgpr_workgroup_info 0
		.amdhsa_system_vgpr_workitem_id 0
		.amdhsa_next_free_vgpr 201
		.amdhsa_next_free_sgpr 22
		.amdhsa_reserve_vcc 1
		.amdhsa_reserve_flat_scratch 0
		.amdhsa_float_round_mode_32 0
		.amdhsa_float_round_mode_16_64 0
		.amdhsa_float_denorm_mode_32 3
		.amdhsa_float_denorm_mode_16_64 3
		.amdhsa_dx10_clamp 1
		.amdhsa_ieee_mode 1
		.amdhsa_fp16_overflow 0
		.amdhsa_exception_fp_ieee_invalid_op 0
		.amdhsa_exception_fp_denorm_src 0
		.amdhsa_exception_fp_ieee_div_zero 0
		.amdhsa_exception_fp_ieee_overflow 0
		.amdhsa_exception_fp_ieee_underflow 0
		.amdhsa_exception_fp_ieee_inexact 0
		.amdhsa_exception_int_div_zero 0
	.end_amdhsa_kernel
	.text
.Lfunc_end0:
	.size	bluestein_single_fwd_len1716_dim1_sp_op_CI_CI, .Lfunc_end0-bluestein_single_fwd_len1716_dim1_sp_op_CI_CI
                                        ; -- End function
	.section	.AMDGPU.csdata,"",@progbits
; Kernel info:
; codeLenInByte = 17196
; NumSgprs: 26
; NumVgprs: 201
; ScratchSize: 0
; MemoryBound: 0
; FloatMode: 240
; IeeeMode: 1
; LDSByteSize: 13728 bytes/workgroup (compile time only)
; SGPRBlocks: 3
; VGPRBlocks: 50
; NumSGPRsForWavesPerEU: 26
; NumVGPRsForWavesPerEU: 201
; Occupancy: 1
; WaveLimiterHint : 1
; COMPUTE_PGM_RSRC2:SCRATCH_EN: 0
; COMPUTE_PGM_RSRC2:USER_SGPR: 6
; COMPUTE_PGM_RSRC2:TRAP_HANDLER: 0
; COMPUTE_PGM_RSRC2:TGID_X_EN: 1
; COMPUTE_PGM_RSRC2:TGID_Y_EN: 0
; COMPUTE_PGM_RSRC2:TGID_Z_EN: 0
; COMPUTE_PGM_RSRC2:TIDIG_COMP_CNT: 0
	.type	__hip_cuid_7cbed2b99a8ef140,@object ; @__hip_cuid_7cbed2b99a8ef140
	.section	.bss,"aw",@nobits
	.globl	__hip_cuid_7cbed2b99a8ef140
__hip_cuid_7cbed2b99a8ef140:
	.byte	0                               ; 0x0
	.size	__hip_cuid_7cbed2b99a8ef140, 1

	.ident	"AMD clang version 19.0.0git (https://github.com/RadeonOpenCompute/llvm-project roc-6.4.0 25133 c7fe45cf4b819c5991fe208aaa96edf142730f1d)"
	.section	".note.GNU-stack","",@progbits
	.addrsig
	.addrsig_sym __hip_cuid_7cbed2b99a8ef140
	.amdgpu_metadata
---
amdhsa.kernels:
  - .args:
      - .actual_access:  read_only
        .address_space:  global
        .offset:         0
        .size:           8
        .value_kind:     global_buffer
      - .actual_access:  read_only
        .address_space:  global
        .offset:         8
        .size:           8
        .value_kind:     global_buffer
      - .actual_access:  read_only
        .address_space:  global
        .offset:         16
        .size:           8
        .value_kind:     global_buffer
      - .actual_access:  read_only
        .address_space:  global
        .offset:         24
        .size:           8
        .value_kind:     global_buffer
      - .actual_access:  read_only
        .address_space:  global
        .offset:         32
        .size:           8
        .value_kind:     global_buffer
      - .offset:         40
        .size:           8
        .value_kind:     by_value
      - .address_space:  global
        .offset:         48
        .size:           8
        .value_kind:     global_buffer
      - .address_space:  global
        .offset:         56
        .size:           8
        .value_kind:     global_buffer
      - .address_space:  global
        .offset:         64
        .size:           8
        .value_kind:     global_buffer
      - .address_space:  global
        .offset:         72
        .size:           8
        .value_kind:     global_buffer
      - .offset:         80
        .size:           4
        .value_kind:     by_value
      - .address_space:  global
        .offset:         88
        .size:           8
        .value_kind:     global_buffer
      - .address_space:  global
        .offset:         96
        .size:           8
        .value_kind:     global_buffer
    .group_segment_fixed_size: 13728
    .kernarg_segment_align: 8
    .kernarg_segment_size: 104
    .language:       OpenCL C
    .language_version:
      - 2
      - 0
    .max_flat_workgroup_size: 156
    .name:           bluestein_single_fwd_len1716_dim1_sp_op_CI_CI
    .private_segment_fixed_size: 0
    .sgpr_count:     26
    .sgpr_spill_count: 0
    .symbol:         bluestein_single_fwd_len1716_dim1_sp_op_CI_CI.kd
    .uniform_work_group_size: 1
    .uses_dynamic_stack: false
    .vgpr_count:     201
    .vgpr_spill_count: 0
    .wavefront_size: 64
amdhsa.target:   amdgcn-amd-amdhsa--gfx906
amdhsa.version:
  - 1
  - 2
...

	.end_amdgpu_metadata
